;; amdgpu-corpus repo=ROCm/rocFFT kind=compiled arch=gfx1100 opt=O3
	.text
	.amdgcn_target "amdgcn-amd-amdhsa--gfx1100"
	.amdhsa_code_object_version 6
	.protected	fft_rtc_fwd_len952_factors_17_4_2_7_wgs_204_tpt_68_halfLds_sp_op_CI_CI_unitstride_sbrr_R2C_dirReg ; -- Begin function fft_rtc_fwd_len952_factors_17_4_2_7_wgs_204_tpt_68_halfLds_sp_op_CI_CI_unitstride_sbrr_R2C_dirReg
	.globl	fft_rtc_fwd_len952_factors_17_4_2_7_wgs_204_tpt_68_halfLds_sp_op_CI_CI_unitstride_sbrr_R2C_dirReg
	.p2align	8
	.type	fft_rtc_fwd_len952_factors_17_4_2_7_wgs_204_tpt_68_halfLds_sp_op_CI_CI_unitstride_sbrr_R2C_dirReg,@function
fft_rtc_fwd_len952_factors_17_4_2_7_wgs_204_tpt_68_halfLds_sp_op_CI_CI_unitstride_sbrr_R2C_dirReg: ; @fft_rtc_fwd_len952_factors_17_4_2_7_wgs_204_tpt_68_halfLds_sp_op_CI_CI_unitstride_sbrr_R2C_dirReg
; %bb.0:
	s_load_b128 s[8:11], s[0:1], 0x0
	v_mul_u32_u24_e32 v1, 0x3c4, v0
	s_clause 0x1
	s_load_b128 s[4:7], s[0:1], 0x58
	s_load_b128 s[16:19], s[0:1], 0x18
	v_mov_b32_e32 v5, 0
	v_lshrrev_b32_e32 v6, 16, v1
	v_mov_b32_e32 v1, 0
	v_mov_b32_e32 v2, 0
	s_delay_alu instid0(VALU_DEP_3) | instskip(NEXT) | instid1(VALU_DEP_2)
	v_mad_u64_u32 v[3:4], null, s15, 3, v[6:7]
	v_dual_mov_b32 v4, v5 :: v_dual_mov_b32 v41, v2
	s_delay_alu instid0(VALU_DEP_1) | instskip(NEXT) | instid1(VALU_DEP_3)
	v_dual_mov_b32 v40, v1 :: v_dual_mov_b32 v45, v4
	v_mov_b32_e32 v44, v3
	s_waitcnt lgkmcnt(0)
	v_cmp_lt_u64_e64 s2, s[10:11], 2
	s_delay_alu instid0(VALU_DEP_1)
	s_and_b32 vcc_lo, exec_lo, s2
	s_cbranch_vccnz .LBB0_8
; %bb.1:
	s_load_b64 s[2:3], s[0:1], 0x10
	v_dual_mov_b32 v1, 0 :: v_dual_mov_b32 v8, v4
	v_dual_mov_b32 v2, 0 :: v_dual_mov_b32 v7, v3
	s_add_u32 s12, s18, 8
	s_addc_u32 s13, s19, 0
	s_add_u32 s14, s16, 8
	s_delay_alu instid0(VALU_DEP_1)
	v_dual_mov_b32 v41, v2 :: v_dual_mov_b32 v40, v1
	s_addc_u32 s15, s17, 0
	s_mov_b64 s[22:23], 1
	s_waitcnt lgkmcnt(0)
	s_add_u32 s20, s2, 8
	s_addc_u32 s21, s3, 0
.LBB0_2:                                ; =>This Inner Loop Header: Depth=1
	s_load_b64 s[24:25], s[20:21], 0x0
                                        ; implicit-def: $vgpr44_vgpr45
	s_mov_b32 s2, exec_lo
	s_waitcnt lgkmcnt(0)
	v_or_b32_e32 v6, s25, v8
	s_delay_alu instid0(VALU_DEP_1)
	v_cmpx_ne_u64_e32 0, v[5:6]
	s_xor_b32 s3, exec_lo, s2
	s_cbranch_execz .LBB0_4
; %bb.3:                                ;   in Loop: Header=BB0_2 Depth=1
	v_cvt_f32_u32_e32 v4, s24
	v_cvt_f32_u32_e32 v6, s25
	s_sub_u32 s2, 0, s24
	s_subb_u32 s26, 0, s25
	s_delay_alu instid0(VALU_DEP_1) | instskip(NEXT) | instid1(VALU_DEP_1)
	v_fmac_f32_e32 v4, 0x4f800000, v6
	v_rcp_f32_e32 v4, v4
	s_waitcnt_depctr 0xfff
	v_mul_f32_e32 v4, 0x5f7ffffc, v4
	s_delay_alu instid0(VALU_DEP_1) | instskip(NEXT) | instid1(VALU_DEP_1)
	v_mul_f32_e32 v6, 0x2f800000, v4
	v_trunc_f32_e32 v6, v6
	s_delay_alu instid0(VALU_DEP_1) | instskip(SKIP_1) | instid1(VALU_DEP_2)
	v_fmac_f32_e32 v4, 0xcf800000, v6
	v_cvt_u32_f32_e32 v6, v6
	v_cvt_u32_f32_e32 v4, v4
	s_delay_alu instid0(VALU_DEP_2) | instskip(NEXT) | instid1(VALU_DEP_2)
	v_mul_lo_u32 v9, s2, v6
	v_mul_hi_u32 v10, s2, v4
	v_mul_lo_u32 v11, s26, v4
	s_delay_alu instid0(VALU_DEP_2) | instskip(SKIP_1) | instid1(VALU_DEP_2)
	v_add_nc_u32_e32 v9, v10, v9
	v_mul_lo_u32 v10, s2, v4
	v_add_nc_u32_e32 v9, v9, v11
	s_delay_alu instid0(VALU_DEP_2) | instskip(NEXT) | instid1(VALU_DEP_2)
	v_mul_hi_u32 v11, v4, v10
	v_mul_lo_u32 v12, v4, v9
	v_mul_hi_u32 v13, v4, v9
	v_mul_hi_u32 v14, v6, v10
	v_mul_lo_u32 v10, v6, v10
	v_mul_hi_u32 v15, v6, v9
	v_mul_lo_u32 v9, v6, v9
	v_add_co_u32 v11, vcc_lo, v11, v12
	v_add_co_ci_u32_e32 v12, vcc_lo, 0, v13, vcc_lo
	s_delay_alu instid0(VALU_DEP_2) | instskip(NEXT) | instid1(VALU_DEP_2)
	v_add_co_u32 v10, vcc_lo, v11, v10
	v_add_co_ci_u32_e32 v10, vcc_lo, v12, v14, vcc_lo
	v_add_co_ci_u32_e32 v11, vcc_lo, 0, v15, vcc_lo
	s_delay_alu instid0(VALU_DEP_2) | instskip(NEXT) | instid1(VALU_DEP_2)
	v_add_co_u32 v9, vcc_lo, v10, v9
	v_add_co_ci_u32_e32 v10, vcc_lo, 0, v11, vcc_lo
	s_delay_alu instid0(VALU_DEP_2) | instskip(NEXT) | instid1(VALU_DEP_2)
	v_add_co_u32 v4, vcc_lo, v4, v9
	v_add_co_ci_u32_e32 v6, vcc_lo, v6, v10, vcc_lo
	s_delay_alu instid0(VALU_DEP_2) | instskip(SKIP_1) | instid1(VALU_DEP_3)
	v_mul_hi_u32 v9, s2, v4
	v_mul_lo_u32 v11, s26, v4
	v_mul_lo_u32 v10, s2, v6
	s_delay_alu instid0(VALU_DEP_1) | instskip(SKIP_1) | instid1(VALU_DEP_2)
	v_add_nc_u32_e32 v9, v9, v10
	v_mul_lo_u32 v10, s2, v4
	v_add_nc_u32_e32 v9, v9, v11
	s_delay_alu instid0(VALU_DEP_2) | instskip(NEXT) | instid1(VALU_DEP_2)
	v_mul_hi_u32 v11, v4, v10
	v_mul_lo_u32 v12, v4, v9
	v_mul_hi_u32 v13, v4, v9
	v_mul_hi_u32 v14, v6, v10
	v_mul_lo_u32 v10, v6, v10
	v_mul_hi_u32 v15, v6, v9
	v_mul_lo_u32 v9, v6, v9
	v_add_co_u32 v11, vcc_lo, v11, v12
	v_add_co_ci_u32_e32 v12, vcc_lo, 0, v13, vcc_lo
	s_delay_alu instid0(VALU_DEP_2) | instskip(NEXT) | instid1(VALU_DEP_2)
	v_add_co_u32 v10, vcc_lo, v11, v10
	v_add_co_ci_u32_e32 v10, vcc_lo, v12, v14, vcc_lo
	v_add_co_ci_u32_e32 v11, vcc_lo, 0, v15, vcc_lo
	s_delay_alu instid0(VALU_DEP_2) | instskip(NEXT) | instid1(VALU_DEP_2)
	v_add_co_u32 v9, vcc_lo, v10, v9
	v_add_co_ci_u32_e32 v10, vcc_lo, 0, v11, vcc_lo
	s_delay_alu instid0(VALU_DEP_2) | instskip(NEXT) | instid1(VALU_DEP_2)
	v_add_co_u32 v4, vcc_lo, v4, v9
	v_add_co_ci_u32_e32 v6, vcc_lo, v6, v10, vcc_lo
	s_delay_alu instid0(VALU_DEP_2) | instskip(SKIP_1) | instid1(VALU_DEP_3)
	v_mul_hi_u32 v15, v7, v4
	v_mad_u64_u32 v[11:12], null, v8, v4, 0
	v_mad_u64_u32 v[9:10], null, v7, v6, 0
	;; [unrolled: 1-line block ×3, first 2 shown]
	s_delay_alu instid0(VALU_DEP_2) | instskip(NEXT) | instid1(VALU_DEP_3)
	v_add_co_u32 v4, vcc_lo, v15, v9
	v_add_co_ci_u32_e32 v6, vcc_lo, 0, v10, vcc_lo
	s_delay_alu instid0(VALU_DEP_2) | instskip(NEXT) | instid1(VALU_DEP_2)
	v_add_co_u32 v4, vcc_lo, v4, v11
	v_add_co_ci_u32_e32 v4, vcc_lo, v6, v12, vcc_lo
	v_add_co_ci_u32_e32 v6, vcc_lo, 0, v14, vcc_lo
	s_delay_alu instid0(VALU_DEP_2) | instskip(NEXT) | instid1(VALU_DEP_2)
	v_add_co_u32 v4, vcc_lo, v4, v13
	v_add_co_ci_u32_e32 v6, vcc_lo, 0, v6, vcc_lo
	s_delay_alu instid0(VALU_DEP_2) | instskip(SKIP_1) | instid1(VALU_DEP_3)
	v_mul_lo_u32 v11, s25, v4
	v_mad_u64_u32 v[9:10], null, s24, v4, 0
	v_mul_lo_u32 v12, s24, v6
	s_delay_alu instid0(VALU_DEP_2) | instskip(NEXT) | instid1(VALU_DEP_2)
	v_sub_co_u32 v9, vcc_lo, v7, v9
	v_add3_u32 v10, v10, v12, v11
	s_delay_alu instid0(VALU_DEP_1) | instskip(NEXT) | instid1(VALU_DEP_1)
	v_sub_nc_u32_e32 v11, v8, v10
	v_subrev_co_ci_u32_e64 v11, s2, s25, v11, vcc_lo
	v_add_co_u32 v12, s2, v4, 2
	s_delay_alu instid0(VALU_DEP_1) | instskip(SKIP_3) | instid1(VALU_DEP_3)
	v_add_co_ci_u32_e64 v13, s2, 0, v6, s2
	v_sub_co_u32 v14, s2, v9, s24
	v_sub_co_ci_u32_e32 v10, vcc_lo, v8, v10, vcc_lo
	v_subrev_co_ci_u32_e64 v11, s2, 0, v11, s2
	v_cmp_le_u32_e32 vcc_lo, s24, v14
	s_delay_alu instid0(VALU_DEP_3) | instskip(SKIP_1) | instid1(VALU_DEP_4)
	v_cmp_eq_u32_e64 s2, s25, v10
	v_cndmask_b32_e64 v14, 0, -1, vcc_lo
	v_cmp_le_u32_e32 vcc_lo, s25, v11
	v_cndmask_b32_e64 v15, 0, -1, vcc_lo
	v_cmp_le_u32_e32 vcc_lo, s24, v9
	;; [unrolled: 2-line block ×3, first 2 shown]
	v_cndmask_b32_e64 v16, 0, -1, vcc_lo
	v_cmp_eq_u32_e32 vcc_lo, s25, v11
	s_delay_alu instid0(VALU_DEP_2) | instskip(SKIP_3) | instid1(VALU_DEP_3)
	v_cndmask_b32_e64 v9, v16, v9, s2
	v_cndmask_b32_e32 v11, v15, v14, vcc_lo
	v_add_co_u32 v14, vcc_lo, v4, 1
	v_add_co_ci_u32_e32 v15, vcc_lo, 0, v6, vcc_lo
	v_cmp_ne_u32_e32 vcc_lo, 0, v11
	s_delay_alu instid0(VALU_DEP_2) | instskip(SKIP_1) | instid1(VALU_DEP_2)
	v_dual_cndmask_b32 v10, v15, v13 :: v_dual_cndmask_b32 v11, v14, v12
	v_cmp_ne_u32_e32 vcc_lo, 0, v9
	v_dual_cndmask_b32 v45, v6, v10 :: v_dual_cndmask_b32 v44, v4, v11
.LBB0_4:                                ;   in Loop: Header=BB0_2 Depth=1
	s_and_not1_saveexec_b32 s2, s3
	s_cbranch_execz .LBB0_6
; %bb.5:                                ;   in Loop: Header=BB0_2 Depth=1
	v_cvt_f32_u32_e32 v4, s24
	s_sub_i32 s3, 0, s24
	v_mov_b32_e32 v45, v5
	s_delay_alu instid0(VALU_DEP_2) | instskip(SKIP_2) | instid1(VALU_DEP_1)
	v_rcp_iflag_f32_e32 v4, v4
	s_waitcnt_depctr 0xfff
	v_mul_f32_e32 v4, 0x4f7ffffe, v4
	v_cvt_u32_f32_e32 v4, v4
	s_delay_alu instid0(VALU_DEP_1) | instskip(NEXT) | instid1(VALU_DEP_1)
	v_mul_lo_u32 v6, s3, v4
	v_mul_hi_u32 v6, v4, v6
	s_delay_alu instid0(VALU_DEP_1) | instskip(NEXT) | instid1(VALU_DEP_1)
	v_add_nc_u32_e32 v4, v4, v6
	v_mul_hi_u32 v4, v7, v4
	s_delay_alu instid0(VALU_DEP_1) | instskip(NEXT) | instid1(VALU_DEP_1)
	v_mul_lo_u32 v6, v4, s24
	v_sub_nc_u32_e32 v6, v7, v6
	s_delay_alu instid0(VALU_DEP_1) | instskip(SKIP_1) | instid1(VALU_DEP_2)
	v_subrev_nc_u32_e32 v10, s24, v6
	v_cmp_le_u32_e32 vcc_lo, s24, v6
	v_dual_cndmask_b32 v6, v6, v10 :: v_dual_add_nc_u32 v9, 1, v4
	s_delay_alu instid0(VALU_DEP_1) | instskip(NEXT) | instid1(VALU_DEP_2)
	v_cndmask_b32_e32 v4, v4, v9, vcc_lo
	v_cmp_le_u32_e32 vcc_lo, s24, v6
	s_delay_alu instid0(VALU_DEP_2) | instskip(NEXT) | instid1(VALU_DEP_1)
	v_add_nc_u32_e32 v9, 1, v4
	v_cndmask_b32_e32 v44, v4, v9, vcc_lo
.LBB0_6:                                ;   in Loop: Header=BB0_2 Depth=1
	s_or_b32 exec_lo, exec_lo, s2
	s_delay_alu instid0(VALU_DEP_1) | instskip(NEXT) | instid1(VALU_DEP_2)
	v_mul_lo_u32 v4, v45, s24
	v_mul_lo_u32 v6, v44, s25
	s_load_b64 s[2:3], s[14:15], 0x0
	v_mad_u64_u32 v[9:10], null, v44, s24, 0
	s_load_b64 s[24:25], s[12:13], 0x0
	s_add_u32 s22, s22, 1
	s_addc_u32 s23, s23, 0
	s_add_u32 s12, s12, 8
	s_addc_u32 s13, s13, 0
	s_add_u32 s14, s14, 8
	s_delay_alu instid0(VALU_DEP_1) | instskip(SKIP_3) | instid1(VALU_DEP_2)
	v_add3_u32 v4, v10, v6, v4
	v_sub_co_u32 v10, vcc_lo, v7, v9
	s_addc_u32 s15, s15, 0
	s_add_u32 s20, s20, 8
	v_sub_co_ci_u32_e32 v4, vcc_lo, v8, v4, vcc_lo
	s_addc_u32 s21, s21, 0
	s_waitcnt lgkmcnt(0)
	s_delay_alu instid0(VALU_DEP_1)
	v_mul_lo_u32 v11, s2, v4
	v_mul_lo_u32 v12, s3, v10
	v_mad_u64_u32 v[6:7], null, s2, v10, v[1:2]
	v_mul_lo_u32 v4, s24, v4
	v_mul_lo_u32 v13, s25, v10
	v_mad_u64_u32 v[8:9], null, s24, v10, v[40:41]
	v_cmp_ge_u64_e64 s2, s[22:23], s[10:11]
	v_add3_u32 v2, v12, v7, v11
	s_delay_alu instid0(VALU_DEP_3) | instskip(NEXT) | instid1(VALU_DEP_4)
	v_dual_mov_b32 v1, v6 :: v_dual_mov_b32 v40, v8
	v_add3_u32 v41, v13, v9, v4
	s_delay_alu instid0(VALU_DEP_4)
	s_and_b32 vcc_lo, exec_lo, s2
	s_cbranch_vccnz .LBB0_8
; %bb.7:                                ;   in Loop: Header=BB0_2 Depth=1
	v_dual_mov_b32 v7, v44 :: v_dual_mov_b32 v8, v45
	s_branch .LBB0_2
.LBB0_8:
	s_load_b64 s[0:1], s[0:1], 0x28
	v_mul_hi_u32 v4, 0xaaaaaaab, v3
	s_lshl_b64 s[10:11], s[10:11], 3
                                        ; implicit-def: $vgpr42
	s_delay_alu instid0(SALU_CYCLE_1) | instskip(SKIP_1) | instid1(VALU_DEP_1)
	s_add_u32 s2, s18, s10
	s_addc_u32 s3, s19, s11
	v_lshrrev_b32_e32 v4, 1, v4
	s_delay_alu instid0(VALU_DEP_1) | instskip(SKIP_1) | instid1(VALU_DEP_2)
	v_lshl_add_u32 v5, v4, 1, v4
	v_mul_hi_u32 v4, 0x3c3c3c4, v0
	v_sub_nc_u32_e32 v3, v3, v5
	s_waitcnt lgkmcnt(0)
	v_cmp_gt_u64_e32 vcc_lo, s[0:1], v[44:45]
	v_cmp_le_u64_e64 s0, s[0:1], v[44:45]
	s_delay_alu instid0(VALU_DEP_1) | instskip(NEXT) | instid1(SALU_CYCLE_1)
	s_and_saveexec_b32 s1, s0
	s_xor_b32 s0, exec_lo, s1
; %bb.9:
	s_delay_alu instid0(VALU_DEP_4) | instskip(NEXT) | instid1(VALU_DEP_1)
	v_mul_u32_u24_e32 v1, 0x44, v4
                                        ; implicit-def: $vgpr4
	v_sub_nc_u32_e32 v42, v0, v1
                                        ; implicit-def: $vgpr0
                                        ; implicit-def: $vgpr1_vgpr2
; %bb.10:
	s_or_saveexec_b32 s1, s0
	v_mul_u32_u24_e32 v3, 0x3b9, v3
	s_delay_alu instid0(VALU_DEP_1)
	v_lshlrev_b32_e32 v62, 3, v3
	s_xor_b32 exec_lo, exec_lo, s1
	s_cbranch_execz .LBB0_12
; %bb.11:
	s_add_u32 s10, s16, s10
	s_addc_u32 s11, s17, s11
	v_lshlrev_b64 v[1:2], 3, v[1:2]
	s_load_b64 s[10:11], s[10:11], 0x0
	s_waitcnt lgkmcnt(0)
	v_mul_lo_u32 v3, s11, v44
	v_mul_lo_u32 v7, s10, v45
	v_mad_u64_u32 v[5:6], null, s10, v44, 0
	s_delay_alu instid0(VALU_DEP_1) | instskip(SKIP_1) | instid1(VALU_DEP_2)
	v_add3_u32 v6, v6, v7, v3
	v_mul_u32_u24_e32 v7, 0x44, v4
	v_lshlrev_b64 v[3:4], 3, v[5:6]
	s_delay_alu instid0(VALU_DEP_2) | instskip(NEXT) | instid1(VALU_DEP_1)
	v_sub_nc_u32_e32 v42, v0, v7
	v_lshlrev_b32_e32 v28, 3, v42
	s_delay_alu instid0(VALU_DEP_3) | instskip(NEXT) | instid1(VALU_DEP_1)
	v_add_co_u32 v0, s0, s4, v3
	v_add_co_ci_u32_e64 v3, s0, s5, v4, s0
	s_delay_alu instid0(VALU_DEP_2) | instskip(NEXT) | instid1(VALU_DEP_1)
	v_add_co_u32 v0, s0, v0, v1
	v_add_co_ci_u32_e64 v1, s0, v3, v2, s0
	s_delay_alu instid0(VALU_DEP_2) | instskip(NEXT) | instid1(VALU_DEP_1)
	v_add_co_u32 v0, s0, v0, v28
	v_add_co_ci_u32_e64 v1, s0, 0, v1, s0
	s_clause 0x3
	global_load_b64 v[2:3], v[0:1], off
	global_load_b64 v[4:5], v[0:1], off offset:544
	global_load_b64 v[6:7], v[0:1], off offset:1088
	;; [unrolled: 1-line block ×3, first 2 shown]
	v_add_co_u32 v10, s0, 0x1000, v0
	s_delay_alu instid0(VALU_DEP_1)
	v_add_co_ci_u32_e64 v11, s0, 0, v1, s0
	s_clause 0x9
	global_load_b64 v[12:13], v[0:1], off offset:2176
	global_load_b64 v[14:15], v[0:1], off offset:2720
	global_load_b64 v[16:17], v[0:1], off offset:3264
	global_load_b64 v[0:1], v[0:1], off offset:3808
	global_load_b64 v[18:19], v[10:11], off offset:256
	global_load_b64 v[20:21], v[10:11], off offset:800
	global_load_b64 v[22:23], v[10:11], off offset:1344
	global_load_b64 v[24:25], v[10:11], off offset:1888
	global_load_b64 v[26:27], v[10:11], off offset:2432
	global_load_b64 v[10:11], v[10:11], off offset:2976
	v_add3_u32 v28, 0, v62, v28
	s_delay_alu instid0(VALU_DEP_1)
	v_add_nc_u32_e32 v29, 0x800, v28
	v_add_nc_u32_e32 v30, 0x1000, v28
	;; [unrolled: 1-line block ×3, first 2 shown]
	s_waitcnt vmcnt(12)
	ds_store_2addr_b64 v28, v[2:3], v[4:5] offset1:68
	s_waitcnt vmcnt(10)
	ds_store_2addr_b64 v28, v[6:7], v[8:9] offset0:136 offset1:204
	s_waitcnt vmcnt(8)
	ds_store_2addr_b64 v29, v[12:13], v[14:15] offset0:16 offset1:84
	s_waitcnt vmcnt(6)
	ds_store_2addr_b64 v29, v[16:17], v[0:1] offset0:152 offset1:220
	s_waitcnt vmcnt(4)
	ds_store_2addr_b64 v30, v[18:19], v[20:21] offset0:32 offset1:100
	s_waitcnt vmcnt(2)
	ds_store_2addr_b64 v30, v[22:23], v[24:25] offset0:168 offset1:236
	s_waitcnt vmcnt(0)
	ds_store_2addr_b64 v31, v[26:27], v[10:11] offset0:48 offset1:116
.LBB0_12:
	s_or_b32 exec_lo, exec_lo, s1
	v_lshlrev_b32_e32 v60, 3, v42
	s_waitcnt lgkmcnt(0)
	s_barrier
	buffer_gl0_inv
	s_mov_b32 s1, exec_lo
	v_add_nc_u32_e32 v0, 0, v60
	s_delay_alu instid0(VALU_DEP_1) | instskip(NEXT) | instid1(VALU_DEP_1)
	v_add_nc_u32_e32 v61, v0, v62
	v_add_nc_u32_e32 v0, 0x1800, v61
	ds_load_2addr_b64 v[36:39], v61 offset0:56 offset1:112
	ds_load_2addr_b64 v[4:7], v0 offset0:72 offset1:128
	s_waitcnt lgkmcnt(0)
	v_dual_sub_f32 v85, v38, v4 :: v_dual_add_nc_u32 v58, 0, v62
	v_add_f32_e32 v66, v7, v37
	v_dual_add_f32 v68, v5, v39 :: v_dual_add_nc_u32 v63, 0x1400, v61
	ds_load_2addr_b64 v[32:35], v61 offset0:168 offset1:224
	ds_load_2addr_b64 v[8:11], v63 offset0:88 offset1:144
	v_dual_add_f32 v67, v4, v38 :: v_dual_add_nc_u32 v64, 0x800, v61
	v_add_nc_u32_e32 v43, 0x1000, v61
	v_add_f32_e32 v65, v6, v36
	v_add_nc_u32_e32 v59, v58, v60
	v_dual_sub_f32 v81, v36, v6 :: v_dual_add_nc_u32 v0, 0xc00, v61
	v_sub_f32_e32 v75, v37, v7
	v_sub_f32_e32 v77, v39, v5
	v_mul_f32_e32 v160, 0x3f06c442, v85
	v_mul_f32_e32 v125, 0xbf4c4adb, v85
	;; [unrolled: 1-line block ×4, first 2 shown]
	v_dual_mul_f32 v116, 0xbf65296c, v75 :: v_dual_mul_f32 v123, 0xbf65296c, v81
	v_fma_f32 v51, 0xbf59a7d5, v68, -v160
	v_mul_f32_e32 v158, 0xbf763a35, v81
	v_fma_f32 v1, 0x3f3d2fb0, v66, -v107
	v_fma_f32 v15, 0xbf1a4643, v68, -v125
	s_waitcnt lgkmcnt(0)
	v_dual_add_f32 v69, v10, v32 :: v_dual_add_f32 v70, v11, v33
	v_sub_f32_e32 v86, v32, v10
	ds_load_2addr_b64 v[28:31], v64 offset0:24 offset1:80
	ds_load_2addr_b64 v[16:19], v43 offset0:104 offset1:160
	ds_load_b64 v[46:47], v59
	ds_load_2addr_b64 v[24:27], v64 offset0:136 offset1:192
	ds_load_2addr_b64 v[20:23], v0 offset0:120 offset1:176
	v_sub_f32_e32 v80, v35, v9
	v_mul_f32_e32 v106, 0xbf7ee86f, v85
	v_sub_f32_e32 v78, v33, v11
	v_dual_sub_f32 v90, v34, v8 :: v_dual_add_f32 v71, v8, v34
	v_add_f32_e32 v72, v9, v35
	v_fma_f32 v14, 0x3ee437d1, v66, -v123
	v_mul_f32_e32 v117, 0xbf4c4adb, v77
	v_mul_f32_e32 v124, 0x3e3c28d5, v86
	;; [unrolled: 1-line block ×5, first 2 shown]
	v_fma_f32 v49, 0xbe8c1d8e, v66, -v158
	v_mul_f32_e32 v152, 0x3f06c442, v77
	s_waitcnt lgkmcnt(0)
	s_barrier
	v_dual_sub_f32 v92, v28, v18 :: v_dual_add_f32 v73, v18, v28
	v_add_f32_e32 v74, v19, v29
	v_dual_mul_f32 v94, 0xbe3c28d5, v80 :: v_dual_add_f32 v1, v47, v1
	v_add_f32_e32 v79, v17, v31
	v_fma_f32 v3, 0x3dbcf732, v68, -v106
	v_fmamk_f32 v0, v65, 0x3f3d2fb0, v101
	v_sub_f32_e32 v83, v29, v19
	v_dual_mul_f32 v103, 0x3f06c442, v92 :: v_dual_add_f32 v76, v16, v30
	s_delay_alu instid0(VALU_DEP_4) | instskip(NEXT) | instid1(VALU_DEP_4)
	v_add_f32_e32 v1, v3, v1
	v_dual_mul_f32 v99, 0xbf7ee86f, v77 :: v_dual_add_f32 v0, v46, v0
	v_dual_sub_f32 v96, v30, v16 :: v_dual_sub_f32 v93, v24, v22
	v_dual_sub_f32 v98, v27, v21 :: v_dual_mul_f32 v113, 0x3f763a35, v80
	s_delay_alu instid0(VALU_DEP_3) | instskip(SKIP_3) | instid1(VALU_DEP_4)
	v_fmamk_f32 v2, v67, 0x3dbcf732, v99
	v_mul_f32_e32 v97, 0xbf4c4adb, v78
	v_sub_f32_e32 v87, v31, v17
	v_dual_sub_f32 v91, v25, v23 :: v_dual_mul_f32 v110, 0x3f763a35, v96
	v_add_f32_e32 v0, v2, v0
	s_delay_alu instid0(VALU_DEP_4) | instskip(SKIP_3) | instid1(VALU_DEP_4)
	v_fmamk_f32 v12, v69, 0xbf1a4643, v97
	v_mul_f32_e32 v105, 0xbf4c4adb, v86
	v_fmamk_f32 v2, v71, 0xbf7ba420, v94
	v_dual_add_f32 v84, v23, v25 :: v_dual_mul_f32 v111, 0x3eb8f4ab, v98
	v_add_f32_e32 v0, v12, v0
	s_delay_alu instid0(VALU_DEP_4) | instskip(SKIP_2) | instid1(VALU_DEP_3)
	v_fma_f32 v13, 0xbf1a4643, v70, -v105
	v_mul_f32_e32 v102, 0xbe3c28d5, v90
	v_dual_mul_f32 v95, 0x3f06c442, v83 :: v_dual_sub_f32 v100, v26, v20
	v_dual_add_f32 v0, v2, v0 :: v_dual_add_f32 v1, v13, v1
	s_delay_alu instid0(VALU_DEP_3) | instskip(NEXT) | instid1(VALU_DEP_3)
	v_fma_f32 v3, 0xbf7ba420, v72, -v102
	v_fmamk_f32 v12, v73, 0xbf59a7d5, v95
	v_fma_f32 v13, 0xbf59a7d5, v74, -v103
	v_dual_mul_f32 v109, 0x3f65296c, v93 :: v_dual_add_f32 v82, v22, v24
	s_delay_alu instid0(VALU_DEP_3) | instskip(SKIP_2) | instid1(VALU_DEP_3)
	v_dual_add_f32 v1, v3, v1 :: v_dual_add_f32 v0, v12, v0
	v_fma_f32 v3, 0xbe8c1d8e, v79, -v110
	v_mul_f32_e32 v108, 0x3f65296c, v91
	v_dual_add_f32 v88, v20, v26 :: v_dual_add_f32 v1, v13, v1
	v_mul_f32_e32 v104, 0x3f763a35, v87
	v_dual_add_f32 v89, v21, v27 :: v_dual_mul_f32 v112, 0x3eb8f4ab, v100
	v_add_f32_e32 v14, v47, v14
	s_delay_alu instid0(VALU_DEP_3) | instskip(SKIP_1) | instid1(VALU_DEP_4)
	v_dual_add_f32 v1, v3, v1 :: v_dual_fmamk_f32 v2, v76, 0xbe8c1d8e, v104
	v_fma_f32 v3, 0x3ee437d1, v84, -v109
	v_fma_f32 v13, 0x3f6eb680, v89, -v112
	v_fmamk_f32 v12, v88, 0x3f6eb680, v111
	v_dual_add_f32 v14, v15, v14 :: v_dual_mul_f32 v131, 0xbf65296c, v83
	s_delay_alu instid0(VALU_DEP_4)
	v_dual_add_f32 v0, v2, v0 :: v_dual_add_f32 v1, v3, v1
	v_fmamk_f32 v3, v67, 0xbf1a4643, v117
	v_fmamk_f32 v2, v82, 0x3ee437d1, v108
	v_fma_f32 v15, 0xbf7ba420, v70, -v124
	v_mul_f32_e32 v122, 0x3f2c7751, v92
	v_mul_f32_e32 v137, 0xbf65296c, v92
	s_delay_alu instid0(VALU_DEP_4)
	v_dual_mul_f32 v129, 0x3f4c4adb, v91 :: v_dual_add_f32 v0, v2, v0
	v_mul_f32_e32 v121, 0x3f763a35, v90
	v_add_f32_e32 v14, v15, v14
	v_mul_f32_e32 v120, 0xbeb8f4ab, v87
	v_mul_f32_e32 v119, 0x3f2c7751, v83
	v_dual_mul_f32 v114, 0xbf7ee86f, v91 :: v_dual_mul_f32 v127, 0xbf7ee86f, v93
	v_fma_f32 v15, 0xbe8c1d8e, v72, -v121
	v_dual_mul_f32 v136, 0x3eb8f4ab, v80 :: v_dual_mul_f32 v143, 0x3eb8f4ab, v90
	s_delay_alu instid0(VALU_DEP_3) | instskip(SKIP_1) | instid1(VALU_DEP_4)
	v_fmamk_f32 v48, v82, 0x3dbcf732, v114
	v_mul_f32_e32 v126, 0xbeb8f4ab, v96
	v_add_f32_e32 v14, v15, v14
	v_fma_f32 v15, 0x3f3d2fb0, v74, -v122
	v_fmamk_f32 v2, v65, 0x3ee437d1, v116
	v_mul_f32_e32 v140, 0xbf06c442, v96
	v_mul_f32_e32 v138, 0x3f4c4adb, v93
	;; [unrolled: 1-line block ×3, first 2 shown]
	v_dual_mul_f32 v150, 0xbf65296c, v80 :: v_dual_mul_f32 v157, 0xbf65296c, v90
	v_dual_add_f32 v2, v46, v2 :: v_dual_mul_f32 v139, 0xbf7ee86f, v81
	v_mul_f32_e32 v156, 0xbe3c28d5, v92
	v_dual_mul_f32 v148, 0x3f7ee86f, v87 :: v_dual_mul_f32 v155, 0x3f7ee86f, v96
	s_delay_alu instid0(VALU_DEP_3)
	v_dual_add_f32 v2, v3, v2 :: v_dual_fmamk_f32 v3, v69, 0xbf7ba420, v118
	v_mul_f32_e32 v141, 0xbe3c28d5, v85
	v_mul_f32_e32 v154, 0xbeb8f4ab, v93
	;; [unrolled: 1-line block ×3, first 2 shown]
	v_fmamk_f32 v50, v67, 0xbf59a7d5, v152
	v_add_f32_e32 v2, v3, v2
	v_fmamk_f32 v3, v71, 0xbe8c1d8e, v113
	v_mul_f32_e32 v144, 0x3f2c7751, v100
	v_mul_f32_e32 v128, 0xbf06c442, v100
	buffer_gl0_inv
	v_add_f32_e32 v49, v47, v49
	v_dual_add_f32 v2, v3, v2 :: v_dual_fmamk_f32 v3, v73, 0x3f3d2fb0, v119
	v_fma_f32 v52, 0x3f3d2fb0, v89, -v144
	v_mul_f32_e32 v145, 0xbf763a35, v75
	s_delay_alu instid0(VALU_DEP_4) | instskip(SKIP_4) | instid1(VALU_DEP_4)
	v_add_f32_e32 v49, v51, v49
	v_fma_f32 v51, 0x3f3d2fb0, v70, -v159
	v_dual_add_f32 v2, v3, v2 :: v_dual_fmamk_f32 v3, v76, 0x3f6eb680, v120
	v_mul_f32_e32 v134, 0x3f763a35, v78
	v_mul_f32_e32 v135, 0x3f2c7751, v98
	v_add_f32_e32 v49, v51, v49
	v_fma_f32 v51, 0x3ee437d1, v72, -v157
	v_add_f32_e32 v3, v3, v2
	v_dual_mul_f32 v115, 0xbf06c442, v98 :: v_dual_add_f32 v2, v12, v0
	v_mul_f32_e32 v151, 0x3f2c7751, v78
	s_delay_alu instid0(VALU_DEP_3)
	v_dual_add_f32 v49, v51, v49 :: v_dual_add_f32 v0, v48, v3
	v_add_f32_e32 v3, v13, v1
	v_fma_f32 v13, 0x3dbcf732, v66, -v139
	v_add_f32_e32 v1, v15, v14
	v_fma_f32 v15, 0xbf7ba420, v68, -v141
	v_fma_f32 v48, 0x3f6eb680, v79, -v126
	;; [unrolled: 1-line block ×3, first 2 shown]
	v_add_f32_e32 v13, v47, v13
	v_mul_f32_e32 v149, 0xbe3c28d5, v83
	v_mul_f32_e32 v147, 0xbeb8f4ab, v91
	v_add_f32_e32 v1, v48, v1
	v_fma_f32 v48, 0x3dbcf732, v84, -v127
	v_add_f32_e32 v13, v15, v13
	v_fma_f32 v15, 0xbe8c1d8e, v70, -v142
	v_dual_mul_f32 v130, 0xbf7ee86f, v75 :: v_dual_add_f32 v49, v51, v49
	s_delay_alu instid0(VALU_DEP_4) | instskip(SKIP_1) | instid1(VALU_DEP_4)
	v_add_f32_e32 v1, v48, v1
	v_fma_f32 v48, 0xbf59a7d5, v89, -v128
	v_add_f32_e32 v13, v15, v13
	v_fma_f32 v15, 0x3f6eb680, v72, -v143
	v_fmamk_f32 v14, v67, 0xbf7ba420, v133
	v_fma_f32 v51, 0x3dbcf732, v79, -v155
	v_add_f32_e32 v1, v48, v1
	v_fmamk_f32 v53, v88, 0xbf1a4643, v146
	v_add_f32_e32 v13, v15, v13
	v_fma_f32 v15, 0x3ee437d1, v74, -v137
	v_add_f32_e32 v49, v51, v49
	v_fma_f32 v51, 0x3f6eb680, v84, -v154
	v_mul_f32_e32 v132, 0xbf06c442, v87
	v_mul_f32_e32 v153, 0xbf4c4adb, v100
	v_add_f32_e32 v13, v15, v13
	v_fma_f32 v15, 0xbf59a7d5, v79, -v140
	v_add_f32_e32 v49, v51, v49
	s_delay_alu instid0(VALU_DEP_4) | instskip(NEXT) | instid1(VALU_DEP_3)
	v_fma_f32 v51, 0xbf1a4643, v89, -v153
	v_add_f32_e32 v13, v15, v13
	v_fma_f32 v15, 0xbf1a4643, v84, -v138
	s_delay_alu instid0(VALU_DEP_1) | instskip(NEXT) | instid1(VALU_DEP_1)
	v_dual_fmamk_f32 v12, v88, 0xbf59a7d5, v115 :: v_dual_add_f32 v13, v15, v13
	v_add_f32_e32 v0, v12, v0
	v_fmamk_f32 v12, v65, 0x3dbcf732, v130
	s_delay_alu instid0(VALU_DEP_1) | instskip(NEXT) | instid1(VALU_DEP_1)
	v_dual_fmamk_f32 v15, v88, 0x3f3d2fb0, v135 :: v_dual_add_f32 v12, v46, v12
	v_add_f32_e32 v12, v14, v12
	v_fmamk_f32 v14, v69, 0xbe8c1d8e, v134
	s_delay_alu instid0(VALU_DEP_1) | instskip(SKIP_1) | instid1(VALU_DEP_1)
	v_add_f32_e32 v12, v14, v12
	v_fmamk_f32 v14, v71, 0x3f6eb680, v136
	v_add_f32_e32 v12, v14, v12
	v_fmamk_f32 v14, v73, 0x3ee437d1, v131
	s_delay_alu instid0(VALU_DEP_1) | instskip(SKIP_1) | instid1(VALU_DEP_1)
	v_add_f32_e32 v12, v14, v12
	v_fmamk_f32 v14, v76, 0xbf59a7d5, v132
	v_add_f32_e32 v12, v14, v12
	v_fmamk_f32 v14, v82, 0xbf1a4643, v129
	s_delay_alu instid0(VALU_DEP_1) | instskip(SKIP_1) | instid1(VALU_DEP_1)
	v_add_f32_e32 v12, v14, v12
	v_fmamk_f32 v14, v65, 0xbe8c1d8e, v145
	v_add_f32_e32 v14, v46, v14
	s_delay_alu instid0(VALU_DEP_1) | instskip(SKIP_1) | instid1(VALU_DEP_1)
	v_add_f32_e32 v14, v50, v14
	v_fmamk_f32 v50, v69, 0x3f3d2fb0, v151
	v_add_f32_e32 v14, v50, v14
	v_fmamk_f32 v50, v71, 0x3ee437d1, v150
	s_delay_alu instid0(VALU_DEP_1) | instskip(SKIP_1) | instid1(VALU_DEP_1)
	v_add_f32_e32 v14, v50, v14
	v_fmamk_f32 v50, v73, 0xbf7ba420, v149
	v_add_f32_e32 v14, v50, v14
	v_fmamk_f32 v50, v76, 0x3dbcf732, v148
	s_delay_alu instid0(VALU_DEP_1) | instskip(SKIP_1) | instid1(VALU_DEP_1)
	v_add_f32_e32 v14, v50, v14
	v_fmamk_f32 v50, v82, 0x3f6eb680, v147
	v_add_f32_e32 v50, v50, v14
	v_dual_add_f32 v14, v15, v12 :: v_dual_add_f32 v15, v52, v13
	s_delay_alu instid0(VALU_DEP_2)
	v_dual_add_f32 v13, v51, v49 :: v_dual_add_f32 v12, v53, v50
	v_cmpx_gt_u32_e32 56, v42
	s_cbranch_execz .LBB0_14
; %bb.13:
	v_mul_f32_e32 v164, 0x3f763a35, v77
	v_mul_f32_e32 v56, 0xbe8c1d8e, v68
	;; [unrolled: 1-line block ×5, first 2 shown]
	v_fmamk_f32 v51, v67, 0xbe8c1d8e, v164
	v_fmamk_f32 v50, v85, 0xbf763a35, v56
	v_mul_f32_e32 v161, 0xbf4c4adb, v75
	v_mul_f32_e32 v54, 0xbf1a4643, v66
	v_fmamk_f32 v187, v96, 0x3e3c28d5, v185
	v_mul_f32_e32 v171, 0xbe3c28d5, v91
	v_mul_f32_e32 v170, 0xbf7ba420, v84
	v_fmamk_f32 v49, v65, 0xbf1a4643, v161
	v_mul_f32_e32 v162, 0xbf59a7d5, v72
	v_dual_mul_f32 v173, 0x3f65296c, v98 :: v_dual_mul_f32 v176, 0x3f65296c, v77
	v_dual_mul_f32 v172, 0x3ee437d1, v89 :: v_dual_mul_f32 v175, 0x3ee437d1, v68
	s_delay_alu instid0(VALU_DEP_4) | instskip(SKIP_2) | instid1(VALU_DEP_3)
	v_dual_add_f32 v49, v46, v49 :: v_dual_fmamk_f32 v48, v81, 0x3f4c4adb, v54
	v_dual_mul_f32 v181, 0xbf1a4643, v72 :: v_dual_mul_f32 v200, 0xbf1a4643, v74
	v_dual_mul_f32 v183, 0x3f6eb680, v74 :: v_dual_mul_f32 v192, 0x3f6eb680, v68
	v_add_f32_e32 v49, v51, v49
	s_delay_alu instid0(VALU_DEP_4) | instskip(SKIP_3) | instid1(VALU_DEP_4)
	v_dual_mul_f32 v57, 0x3f6eb680, v70 :: v_dual_add_f32 v48, v47, v48
	v_fmamk_f32 v51, v90, 0x3f06c442, v162
	v_mul_f32_e32 v197, 0xbf06c442, v78
	v_mul_f32_e32 v195, 0xbf59a7d5, v70
	v_fmamk_f32 v52, v86, 0x3eb8f4ab, v57
	v_dual_add_f32 v48, v50, v48 :: v_dual_mul_f32 v163, 0x3dbcf732, v74
	v_mul_f32_e32 v199, 0x3f2c7751, v80
	v_mul_f32_e32 v201, 0xbf4c4adb, v83
	s_delay_alu instid0(VALU_DEP_3) | instskip(SKIP_3) | instid1(VALU_DEP_4)
	v_dual_mul_f32 v203, 0x3f65296c, v87 :: v_dual_add_f32 v48, v52, v48
	v_mul_f32_e32 v165, 0xbeb8f4ab, v78
	v_fmac_f32_e32 v56, 0x3f763a35, v85
	v_fma_f32 v161, 0xbf1a4643, v65, -v161
	v_dual_mul_f32 v55, 0xbf59a7d5, v66 :: v_dual_add_f32 v48, v51, v48
	s_delay_alu instid0(VALU_DEP_4) | instskip(NEXT) | instid1(VALU_DEP_3)
	v_fmamk_f32 v50, v69, 0x3f6eb680, v165
	v_dual_mul_f32 v166, 0xbf06c442, v80 :: v_dual_add_f32 v161, v46, v161
	v_fmamk_f32 v179, v67, 0x3ee437d1, v176
	v_fma_f32 v176, 0x3ee437d1, v67, -v176
	s_delay_alu instid0(VALU_DEP_3) | instskip(SKIP_4) | instid1(VALU_DEP_4)
	v_dual_add_f32 v49, v50, v49 :: v_dual_fmamk_f32 v52, v71, 0xbf59a7d5, v166
	v_fmamk_f32 v50, v92, 0xbf7ee86f, v163
	v_mul_f32_e32 v167, 0x3f7ee86f, v83
	v_fmac_f32_e32 v163, 0x3f7ee86f, v92
	v_add_f32_e32 v37, v47, v37
	v_dual_add_f32 v49, v52, v49 :: v_dual_add_f32 v48, v50, v48
	s_delay_alu instid0(VALU_DEP_4)
	v_fmamk_f32 v51, v73, 0x3dbcf732, v167
	v_fmamk_f32 v52, v88, 0x3ee437d1, v173
	v_fma_f32 v173, 0x3ee437d1, v88, -v173
	v_fmac_f32_e32 v57, 0xbeb8f4ab, v86
	v_add_f32_e32 v37, v37, v39
	v_add_f32_e32 v49, v51, v49
	v_fmamk_f32 v51, v76, 0x3f3d2fb0, v169
	v_fmamk_f32 v177, v85, 0xbf65296c, v175
	s_delay_alu instid0(VALU_DEP_4) | instskip(SKIP_1) | instid1(VALU_DEP_4)
	v_dual_mul_f32 v188, 0x3f3d2fb0, v84 :: v_dual_add_f32 v33, v37, v33
	v_mul_f32_e32 v37, 0xbf7ee86f, v80
	v_add_f32_e32 v49, v51, v49
	v_fmamk_f32 v51, v82, 0xbf7ba420, v171
	v_mul_f32_e32 v204, 0xbe8c1d8e, v84
	v_mul_f32_e32 v205, 0xbf763a35, v91
	v_add_f32_e32 v33, v33, v35
	v_fma_f32 v35, 0x3dbcf732, v71, -v37
	v_add_f32_e32 v51, v51, v49
	v_fmamk_f32 v49, v81, 0x3f06c442, v55
	s_delay_alu instid0(VALU_DEP_4) | instskip(SKIP_1) | instid1(VALU_DEP_3)
	v_dual_fmamk_f32 v50, v96, 0x3f2c7751, v168 :: v_dual_add_f32 v29, v33, v29
	v_fmac_f32_e32 v37, 0x3dbcf732, v71
	v_dual_fmamk_f32 v194, v85, 0xbeb8f4ab, v192 :: v_dual_add_f32 v49, v47, v49
	v_mul_f32_e32 v174, 0xbf06c442, v75
	s_delay_alu instid0(VALU_DEP_4) | instskip(SKIP_1) | instid1(VALU_DEP_4)
	v_add_f32_e32 v48, v50, v48
	v_dual_fmac_f32 v192, 0x3eb8f4ab, v85 :: v_dual_add_f32 v29, v29, v31
	v_add_f32_e32 v49, v177, v49
	s_delay_alu instid0(VALU_DEP_4)
	v_fmamk_f32 v53, v65, 0xbf59a7d5, v174
	v_fmamk_f32 v50, v93, 0x3e3c28d5, v170
	v_fma_f32 v174, 0xbf59a7d5, v65, -v174
	v_mul_f32_e32 v193, 0x3eb8f4ab, v77
	v_mul_f32_e32 v77, 0xbf2c7751, v77
	v_add_f32_e32 v53, v46, v53
	v_add_f32_e32 v48, v50, v48
	;; [unrolled: 1-line block ×3, first 2 shown]
	v_fmamk_f32 v50, v100, 0xbf65296c, v172
	s_delay_alu instid0(VALU_DEP_4) | instskip(SKIP_2) | instid1(VALU_DEP_3)
	v_dual_mul_f32 v178, 0x3dbcf732, v70 :: v_dual_add_f32 v53, v179, v53
	v_fmamk_f32 v196, v67, 0x3f6eb680, v193
	v_dual_fmac_f32 v172, 0x3f65296c, v100 :: v_dual_add_f32 v25, v29, v25
	v_fmamk_f32 v177, v86, 0x3f7ee86f, v178
	v_mul_f32_e32 v180, 0xbf7ee86f, v78
	v_mul_f32_e32 v29, 0xbf06c442, v91
	v_mul_f32_e32 v186, 0xbe3c28d5, v87
	v_add_f32_e32 v25, v25, v27
	v_add_f32_e32 v49, v177, v49
	v_fmamk_f32 v177, v90, 0xbf4c4adb, v181
	v_mul_f32_e32 v184, 0xbeb8f4ab, v83
	v_fma_f32 v27, 0xbf59a7d5, v82, -v29
	v_add_f32_e32 v25, v25, v21
	v_fmac_f32_e32 v29, 0xbf59a7d5, v82
	v_add_f32_e32 v49, v177, v49
	v_fmamk_f32 v177, v92, 0x3eb8f4ab, v183
	s_delay_alu instid0(VALU_DEP_4) | instskip(SKIP_1) | instid1(VALU_DEP_3)
	v_dual_mul_f32 v190, 0xbf763a35, v98 :: v_dual_add_f32 v23, v25, v23
	v_mul_f32_e32 v198, 0x3f3d2fb0, v72
	v_dual_add_f32 v174, v176, v174 :: v_dual_add_f32 v177, v177, v49
	v_dual_add_f32 v49, v50, v48 :: v_dual_add_f32 v48, v52, v51
	v_mul_f32_e32 v52, 0xbf7ba420, v66
	v_fma_f32 v176, 0x3dbcf732, v69, -v180
	s_delay_alu instid0(VALU_DEP_4)
	v_add_f32_e32 v50, v187, v177
	v_mul_f32_e32 v187, 0xbe8c1d8e, v89
	v_fma_f32 v164, 0xbe8c1d8e, v67, -v164
	v_fmamk_f32 v191, v81, 0x3e3c28d5, v52
	v_fmac_f32_e32 v52, 0xbe3c28d5, v81
	v_add_f32_e32 v17, v23, v17
	v_fmamk_f32 v51, v100, 0x3f763a35, v187
	v_add_f32_e32 v161, v164, v161
	v_add_f32_e32 v191, v47, v191
	v_dual_add_f32 v52, v47, v52 :: v_dual_fmamk_f32 v177, v93, 0xbf2c7751, v188
	v_fma_f32 v164, 0x3f6eb680, v69, -v165
	v_add_f32_e32 v17, v17, v19
	s_delay_alu instid0(VALU_DEP_3) | instskip(NEXT) | instid1(VALU_DEP_4)
	v_dual_add_f32 v191, v194, v191 :: v_dual_add_f32 v52, v192, v52
	v_dual_add_f32 v50, v177, v50 :: v_dual_mul_f32 v177, 0xbe3c28d5, v75
	s_delay_alu instid0(VALU_DEP_4) | instskip(SKIP_2) | instid1(VALU_DEP_4)
	v_add_f32_e32 v161, v164, v161
	v_fma_f32 v164, 0xbf59a7d5, v71, -v166
	v_mul_f32_e32 v75, 0xbeb8f4ab, v75
	v_dual_add_f32 v51, v51, v50 :: v_dual_fmamk_f32 v50, v65, 0xbf7ba420, v177
	v_add_f32_e32 v9, v17, v9
	s_delay_alu instid0(VALU_DEP_4) | instskip(SKIP_1) | instid1(VALU_DEP_4)
	v_dual_add_f32 v161, v164, v161 :: v_dual_fmamk_f32 v206, v82, 0xbe8c1d8e, v205
	v_add_f32_e32 v174, v176, v174
	v_add_f32_e32 v50, v46, v50
	s_delay_alu instid0(VALU_DEP_4) | instskip(SKIP_2) | instid1(VALU_DEP_4)
	v_dual_fmac_f32 v178, 0xbf7ee86f, v86 :: v_dual_add_f32 v9, v9, v11
	v_fmac_f32_e32 v54, 0xbf4c4adb, v81
	v_fmac_f32_e32 v188, 0x3f2c7751, v93
	v_add_f32_e32 v50, v196, v50
	v_fmamk_f32 v196, v69, 0xbf59a7d5, v197
	v_fmamk_f32 v179, v69, 0x3dbcf732, v180
	;; [unrolled: 1-line block ×3, first 2 shown]
	v_fmac_f32_e32 v195, 0xbf06c442, v86
	s_delay_alu instid0(VALU_DEP_4) | instskip(NEXT) | instid1(VALU_DEP_4)
	v_dual_add_f32 v5, v9, v5 :: v_dual_add_f32 v50, v196, v50
	v_dual_mul_f32 v182, 0x3f4c4adb, v80 :: v_dual_add_f32 v53, v179, v53
	s_delay_alu instid0(VALU_DEP_4) | instskip(NEXT) | instid1(VALU_DEP_4)
	v_dual_add_f32 v191, v194, v191 :: v_dual_fmamk_f32 v196, v71, 0x3f3d2fb0, v199
	v_add_f32_e32 v52, v195, v52
	s_delay_alu instid0(VALU_DEP_3) | instskip(SKIP_3) | instid1(VALU_DEP_4)
	v_fmamk_f32 v179, v71, 0xbf1a4643, v182
	v_fmamk_f32 v194, v90, 0xbf2c7751, v198
	v_fmac_f32_e32 v198, 0x3f2c7751, v90
	v_add_f32_e32 v50, v196, v50
	v_dual_fmamk_f32 v196, v73, 0xbf1a4643, v201 :: v_dual_add_f32 v53, v179, v53
	v_fmamk_f32 v179, v73, 0x3f6eb680, v184
	v_dual_add_f32 v191, v194, v191 :: v_dual_fmamk_f32 v194, v92, 0x3f4c4adb, v200
	s_delay_alu instid0(VALU_DEP_3) | instskip(NEXT) | instid1(VALU_DEP_3)
	v_add_f32_e32 v50, v196, v50
	v_dual_fmamk_f32 v196, v76, 0x3ee437d1, v203 :: v_dual_add_f32 v53, v179, v53
	v_fmamk_f32 v179, v76, 0xbf7ba420, v186
	v_mul_f32_e32 v189, 0x3f2c7751, v91
	v_fma_f32 v176, 0xbf1a4643, v71, -v182
	s_delay_alu instid0(VALU_DEP_4) | instskip(NEXT) | instid1(VALU_DEP_4)
	v_add_f32_e32 v196, v196, v50
	v_dual_mul_f32 v202, 0x3ee437d1, v79 :: v_dual_add_f32 v53, v179, v53
	s_delay_alu instid0(VALU_DEP_4) | instskip(NEXT) | instid1(VALU_DEP_4)
	v_fmamk_f32 v179, v82, 0x3f3d2fb0, v189
	v_dual_fmac_f32 v55, 0xbf06c442, v81 :: v_dual_add_f32 v174, v176, v174
	v_fma_f32 v176, 0x3f6eb680, v73, -v184
	s_delay_alu instid0(VALU_DEP_3) | instskip(SKIP_1) | instid1(VALU_DEP_3)
	v_dual_fmac_f32 v200, 0xbf4c4adb, v92 :: v_dual_add_f32 v53, v179, v53
	v_fmamk_f32 v179, v88, 0xbe8c1d8e, v190
	v_dual_add_f32 v55, v47, v55 :: v_dual_add_f32 v174, v176, v174
	v_fma_f32 v176, 0xbf7ba420, v76, -v186
	v_fmac_f32_e32 v175, 0x3f65296c, v85
	s_delay_alu instid0(VALU_DEP_4)
	v_dual_add_f32 v50, v179, v53 :: v_dual_add_f32 v179, v206, v196
	v_dual_add_f32 v191, v194, v191 :: v_dual_fmamk_f32 v194, v96, 0xbf65296c, v202
	v_add_f32_e32 v196, v198, v52
	v_fma_f32 v53, 0xbf7ba420, v65, -v177
	v_fmac_f32_e32 v202, 0x3f65296c, v96
	v_mul_f32_e32 v85, 0xbf2c7751, v85
	v_dual_add_f32 v191, v194, v191 :: v_dual_fmamk_f32 v194, v93, 0x3f763a35, v204
	v_dual_fmac_f32 v204, 0xbf763a35, v93 :: v_dual_add_f32 v5, v5, v7
	v_add_f32_e32 v174, v176, v174
	v_fma_f32 v176, 0x3f3d2fb0, v82, -v189
	s_delay_alu instid0(VALU_DEP_4)
	v_add_f32_e32 v177, v194, v191
	v_fma_f32 v191, 0x3f6eb680, v67, -v193
	v_mul_f32_e32 v193, 0x3f7ee86f, v98
	v_dual_mul_f32 v192, 0x3dbcf732, v89 :: v_dual_add_f32 v55, v175, v55
	v_add_f32_e32 v174, v176, v174
	v_fma_f32 v176, 0xbe8c1d8e, v88, -v190
	s_delay_alu instid0(VALU_DEP_4) | instskip(NEXT) | instid1(VALU_DEP_4)
	v_fmamk_f32 v195, v88, 0x3dbcf732, v193
	v_dual_add_f32 v53, v46, v53 :: v_dual_fmamk_f32 v194, v100, 0xbf7ee86f, v192
	v_dual_add_f32 v55, v178, v55 :: v_dual_mul_f32 v166, 0x3f3d2fb0, v66
	s_delay_alu instid0(VALU_DEP_3) | instskip(NEXT) | instid1(VALU_DEP_3)
	v_add_f32_e32 v52, v195, v179
	v_add_f32_e32 v53, v191, v53
	v_fma_f32 v191, 0xbf59a7d5, v69, -v197
	v_fma_f32 v197, 0x3f3d2fb0, v71, -v199
	v_fma_f32 v178, 0xbe8c1d8e, v82, -v205
	v_fmac_f32_e32 v162, 0xbf06c442, v90
	v_fmac_f32_e32 v181, 0x3f4c4adb, v90
	v_add_f32_e32 v191, v191, v53
	v_add_f32_e32 v53, v194, v177
	v_add_f32_e32 v177, v200, v196
	s_delay_alu instid0(VALU_DEP_4) | instskip(NEXT) | instid1(VALU_DEP_4)
	v_dual_fmac_f32 v168, 0xbf2c7751, v96 :: v_dual_add_f32 v55, v181, v55
	v_dual_mul_f32 v164, 0x3ee437d1, v65 :: v_dual_add_f32 v179, v197, v191
	v_fma_f32 v191, 0xbf1a4643, v73, -v201
	s_delay_alu instid0(VALU_DEP_4) | instskip(SKIP_2) | instid1(VALU_DEP_4)
	v_add_f32_e32 v175, v202, v177
	v_fmac_f32_e32 v183, 0xbeb8f4ab, v92
	v_fmac_f32_e32 v192, 0x3f7ee86f, v100
	v_dual_fmac_f32 v170, 0xbe3c28d5, v93 :: v_dual_add_f32 v179, v191, v179
	v_fma_f32 v191, 0x3ee437d1, v76, -v203
	v_add_f32_e32 v175, v204, v175
	v_fmac_f32_e32 v185, 0xbe3c28d5, v96
	v_dual_add_f32 v107, v107, v166 :: v_dual_mul_f32 v92, 0xbf763a35, v92
	s_delay_alu instid0(VALU_DEP_4) | instskip(SKIP_2) | instid1(VALU_DEP_3)
	v_add_f32_e32 v177, v191, v179
	v_add_f32_e32 v179, v183, v55
	v_dual_add_f32 v55, v192, v175 :: v_dual_add_f32 v36, v46, v36
	v_dual_mul_f32 v78, 0xbf65296c, v78 :: v_dual_add_f32 v177, v178, v177
	s_delay_alu instid0(VALU_DEP_3) | instskip(SKIP_4) | instid1(VALU_DEP_4)
	v_add_f32_e32 v175, v185, v179
	v_add_f32_e32 v179, v47, v54
	v_fma_f32 v178, 0x3dbcf732, v88, -v193
	v_dual_add_f32 v107, v47, v107 :: v_dual_add_f32 v36, v36, v38
	v_mul_f32_e32 v96, 0xbf4c4adb, v96
	v_add_f32_e32 v56, v56, v179
	s_delay_alu instid0(VALU_DEP_4) | instskip(SKIP_2) | instid1(VALU_DEP_4)
	v_add_f32_e32 v54, v178, v177
	v_sub_f32_e32 v116, v164, v116
	v_mul_f32_e32 v38, 0xbf06c442, v93
	v_dual_mul_f32 v86, 0xbf65296c, v86 :: v_dual_add_f32 v177, v57, v56
	v_add_f32_e32 v56, v176, v174
	v_mul_f32_e32 v174, 0x3dbcf732, v68
	v_mul_f32_e32 v90, 0xbf7ee86f, v90
	v_add_f32_e32 v32, v36, v32
	v_add_f32_e32 v162, v162, v177
	v_mul_f32_e32 v36, 0xbf763a35, v83
	v_dual_add_f32 v106, v106, v174 :: v_dual_fmamk_f32 v83, v84, 0xbf59a7d5, v38
	s_delay_alu instid0(VALU_DEP_4) | instskip(NEXT) | instid1(VALU_DEP_4)
	v_add_f32_e32 v32, v32, v34
	v_add_f32_e32 v162, v163, v162
	v_fma_f32 v163, 0x3dbcf732, v73, -v167
	s_delay_alu instid0(VALU_DEP_4) | instskip(SKIP_2) | instid1(VALU_DEP_4)
	v_add_f32_e32 v107, v106, v107
	v_fma_f32 v34, 0xbe8c1d8e, v73, -v36
	v_add_f32_e32 v28, v32, v28
	v_dual_add_f32 v162, v168, v162 :: v_dual_add_f32 v161, v163, v161
	v_fma_f32 v163, 0x3f3d2fb0, v76, -v169
	v_mul_f32_e32 v169, 0xbe8c1d8e, v66
	v_mul_f32_e32 v168, 0x3dbcf732, v65
	s_delay_alu instid0(VALU_DEP_4) | instskip(NEXT) | instid1(VALU_DEP_4)
	v_add_f32_e32 v162, v170, v162
	v_dual_mul_f32 v170, 0xbf59a7d5, v68 :: v_dual_add_f32 v161, v163, v161
	s_delay_alu instid0(VALU_DEP_4) | instskip(SKIP_2) | instid1(VALU_DEP_4)
	v_add_f32_e32 v158, v158, v169
	v_fma_f32 v169, 0xbf7ba420, v82, -v171
	v_add_f32_e32 v175, v188, v175
	v_dual_fmac_f32 v187, 0xbf763a35, v100 :: v_dual_add_f32 v160, v160, v170
	s_delay_alu instid0(VALU_DEP_3) | instskip(SKIP_1) | instid1(VALU_DEP_3)
	v_dual_add_f32 v158, v47, v158 :: v_dual_add_f32 v161, v169, v161
	v_mul_f32_e32 v169, 0x3f3d2fb0, v70
	v_dual_add_f32 v57, v187, v175 :: v_dual_sub_f32 v130, v168, v130
	s_delay_alu instid0(VALU_DEP_3) | instskip(NEXT) | instid1(VALU_DEP_3)
	v_add_f32_e32 v160, v160, v158
	v_dual_mul_f32 v168, 0x3f6eb680, v79 :: v_dual_add_f32 v169, v159, v169
	v_dual_add_f32 v159, v172, v162 :: v_dual_mul_f32 v162, 0x3ee437d1, v72
	v_dual_mul_f32 v165, 0x3f3d2fb0, v65 :: v_dual_mul_f32 v172, 0x3f3d2fb0, v74
	s_delay_alu instid0(VALU_DEP_3) | instskip(NEXT) | instid1(VALU_DEP_3)
	v_dual_add_f32 v160, v169, v160 :: v_dual_mul_f32 v169, 0xbf59a7d5, v67
	v_add_f32_e32 v157, v157, v162
	v_mul_f32_e32 v162, 0xbf7ba420, v74
	v_mul_f32_e32 v167, 0x3ee437d1, v66
	v_add_f32_e32 v130, v46, v130
	v_sub_f32_e32 v152, v169, v152
	s_delay_alu instid0(VALU_DEP_4) | instskip(SKIP_3) | instid1(VALU_DEP_4)
	v_dual_add_f32 v157, v157, v160 :: v_dual_add_f32 v156, v156, v162
	v_mul_f32_e32 v160, 0x3f3d2fb0, v69
	v_mul_f32_e32 v169, 0xbf7ba420, v68
	v_dual_add_f32 v122, v122, v172 :: v_dual_add_f32 v123, v123, v167
	v_dual_add_f32 v156, v156, v157 :: v_dual_mul_f32 v157, 0x3ee437d1, v71
	v_mul_f32_e32 v171, 0xbe8c1d8e, v65
	v_dual_sub_f32 v151, v160, v151 :: v_dual_mul_f32 v160, 0xbf1a4643, v70
	v_add_f32_e32 v158, v173, v161
	s_delay_alu instid0(VALU_DEP_3)
	v_dual_sub_f32 v150, v157, v150 :: v_dual_sub_f32 v145, v171, v145
	v_mul_f32_e32 v161, 0xbf1a4643, v68
	v_add_f32_e32 v123, v47, v123
	v_mul_f32_e32 v167, 0x3f6eb680, v89
	v_add_f32_e32 v105, v105, v160
	v_dual_add_f32 v145, v46, v145 :: v_dual_mul_f32 v170, 0x3dbcf732, v67
	v_sub_f32_e32 v101, v165, v101
	v_dual_mul_f32 v175, 0xbf1a4643, v67 :: v_dual_mul_f32 v162, 0xbf1a4643, v69
	s_delay_alu instid0(VALU_DEP_3) | instskip(SKIP_3) | instid1(VALU_DEP_4)
	v_dual_add_f32 v145, v152, v145 :: v_dual_mul_f32 v152, 0x3dbcf732, v79
	v_mul_f32_e32 v163, 0x3dbcf732, v66
	v_add_f32_e32 v105, v105, v107
	v_add_f32_e32 v101, v46, v101
	v_dual_sub_f32 v99, v170, v99 :: v_dual_add_f32 v152, v155, v152
	s_delay_alu instid0(VALU_DEP_4) | instskip(SKIP_1) | instid1(VALU_DEP_3)
	v_add_f32_e32 v139, v139, v163
	v_dual_sub_f32 v97, v162, v97 :: v_dual_add_f32 v28, v28, v30
	v_dual_add_f32 v99, v99, v101 :: v_dual_add_f32 v152, v152, v156
	s_delay_alu instid0(VALU_DEP_3) | instskip(NEXT) | instid1(VALU_DEP_3)
	v_dual_mul_f32 v156, 0xbf7ba420, v73 :: v_dual_add_f32 v139, v47, v139
	v_dual_sub_f32 v117, v175, v117 :: v_dual_add_f32 v24, v28, v24
	s_delay_alu instid0(VALU_DEP_2) | instskip(SKIP_2) | instid1(VALU_DEP_4)
	v_dual_mul_f32 v30, 0xbe3c28d5, v100 :: v_dual_sub_f32 v149, v156, v149
	v_mul_f32_e32 v156, 0xbe8c1d8e, v70
	v_mul_f32_e32 v28, 0xbe3c28d5, v98
	v_add_f32_e32 v24, v24, v26
	v_fmac_f32_e32 v36, 0xbe8c1d8e, v73
	s_delay_alu instid0(VALU_DEP_4) | instskip(SKIP_2) | instid1(VALU_DEP_3)
	v_dual_add_f32 v142, v142, v156 :: v_dual_add_f32 v145, v151, v145
	v_mul_f32_e32 v151, 0x3f6eb680, v84
	v_mul_f32_e32 v156, 0xbf59a7d5, v73
	v_dual_add_f32 v24, v24, v20 :: v_dual_add_f32 v145, v150, v145
	s_delay_alu instid0(VALU_DEP_3) | instskip(SKIP_2) | instid1(VALU_DEP_3)
	v_dual_mul_f32 v150, 0xbf1a4643, v89 :: v_dual_add_f32 v151, v154, v151
	v_mul_f32_e32 v154, 0xbe8c1d8e, v69
	v_add_f32_e32 v125, v125, v161
	v_dual_mul_f32 v161, 0xbf59a7d5, v89 :: v_dual_add_f32 v150, v153, v150
	v_mul_f32_e32 v153, 0x3dbcf732, v76
	v_mul_f32_e32 v171, 0xbf7ba420, v67
	v_dual_add_f32 v151, v151, v152 :: v_dual_mul_f32 v152, 0xbf7ba420, v71
	v_add_f32_e32 v141, v141, v169
	s_delay_alu instid0(VALU_DEP_3) | instskip(SKIP_1) | instid1(VALU_DEP_4)
	v_dual_sub_f32 v148, v153, v148 :: v_dual_sub_f32 v133, v171, v133
	v_mul_f32_e32 v153, 0x3f6eb680, v82
	v_dual_sub_f32 v94, v152, v94 :: v_dual_add_f32 v123, v125, v123
	v_add_f32_e32 v22, v24, v22
	s_delay_alu instid0(VALU_DEP_4) | instskip(SKIP_4) | instid1(VALU_DEP_4)
	v_add_f32_e32 v130, v133, v130
	v_add_f32_e32 v145, v149, v145
	v_dual_sub_f32 v133, v154, v134 :: v_dual_mul_f32 v134, 0x3ee437d1, v84
	v_sub_f32_e32 v147, v153, v147
	v_mul_f32_e32 v153, 0x3f6eb680, v72
	v_dual_add_f32 v145, v148, v145 :: v_dual_mul_f32 v148, 0x3f6eb680, v71
	s_delay_alu instid0(VALU_DEP_4) | instskip(NEXT) | instid1(VALU_DEP_3)
	v_dual_mul_f32 v163, 0xbe8c1d8e, v71 :: v_dual_add_f32 v130, v133, v130
	v_dual_add_f32 v143, v143, v153 :: v_dual_mul_f32 v154, 0x3dbcf732, v82
	s_delay_alu instid0(VALU_DEP_3) | instskip(SKIP_2) | instid1(VALU_DEP_3)
	v_sub_f32_e32 v136, v148, v136
	v_dual_mul_f32 v148, 0xbf1a4643, v82 :: v_dual_add_f32 v139, v141, v139
	v_mul_f32_e32 v141, 0xbf1a4643, v88
	v_dual_mul_f32 v149, 0xbf7ba420, v72 :: v_dual_add_f32 v130, v136, v130
	v_dual_mul_f32 v136, 0xbf59a7d5, v88 :: v_dual_add_f32 v145, v147, v145
	s_delay_alu instid0(VALU_DEP_3)
	v_sub_f32_e32 v141, v141, v146
	v_mul_f32_e32 v155, 0xbf7ba420, v69
	v_add_f32_e32 v139, v142, v139
	v_add_f32_e32 v142, v150, v151
	;; [unrolled: 1-line block ×4, first 2 shown]
	v_mul_f32_e32 v145, 0x3ee437d1, v74
	v_sub_f32_e32 v118, v155, v118
	v_add_f32_e32 v139, v143, v139
	v_mul_f32_e32 v143, 0xbe8c1d8e, v79
	v_mul_f32_e32 v153, 0x3ee437d1, v73
	v_add_f32_e32 v137, v137, v145
	v_mul_f32_e32 v145, 0xbf59a7d5, v79
	v_mul_f32_e32 v157, 0xbf7ba420, v70
	v_dual_mul_f32 v151, 0x3f6eb680, v76 :: v_dual_add_f32 v102, v102, v105
	s_delay_alu instid0(VALU_DEP_3) | instskip(SKIP_3) | instid1(VALU_DEP_4)
	v_dual_add_f32 v137, v137, v139 :: v_dual_add_f32 v140, v140, v145
	v_mul_f32_e32 v139, 0xbf59a7d5, v76
	v_mul_f32_e32 v147, 0xbf59a7d5, v74
	v_dual_sub_f32 v131, v153, v131 :: v_dual_mul_f32 v150, 0xbe8c1d8e, v76
	v_dual_add_f32 v137, v140, v137 :: v_dual_mul_f32 v140, 0xbf1a4643, v84
	v_mul_f32_e32 v145, 0x3ee437d1, v82
	s_delay_alu instid0(VALU_DEP_3) | instskip(SKIP_1) | instid1(VALU_DEP_4)
	v_add_f32_e32 v125, v131, v130
	v_sub_f32_e32 v130, v139, v132
	v_dual_add_f32 v103, v103, v147 :: v_dual_add_f32 v138, v138, v140
	v_dual_mul_f32 v169, 0xbe8c1d8e, v72 :: v_dual_add_f32 v124, v124, v157
	v_sub_f32_e32 v113, v163, v113
	s_delay_alu instid0(VALU_DEP_3) | instskip(NEXT) | instid1(VALU_DEP_4)
	v_add_f32_e32 v101, v103, v102
	v_add_f32_e32 v137, v138, v137
	v_mul_f32_e32 v103, 0xbeb8f4ab, v81
	v_add_f32_e32 v81, v97, v99
	v_add_f32_e32 v102, v110, v143
	v_mul_f32_e32 v138, 0x3f3d2fb0, v89
	v_add_f32_e32 v121, v121, v169
	v_fmamk_f32 v99, v66, 0x3f6eb680, v103
	v_dual_add_f32 v81, v94, v81 :: v_dual_sub_f32 v94, v156, v95
	v_add_f32_e32 v97, v102, v101
	v_add_f32_e32 v101, v109, v134
	s_delay_alu instid0(VALU_DEP_4) | instskip(SKIP_2) | instid1(VALU_DEP_4)
	v_add_f32_e32 v95, v47, v99
	v_fmamk_f32 v99, v68, 0x3f3d2fb0, v85
	v_add_f32_e32 v81, v94, v81
	v_dual_sub_f32 v94, v150, v104 :: v_dual_add_f32 v97, v101, v97
	v_add_f32_e32 v101, v112, v167
	s_delay_alu instid0(VALU_DEP_4) | instskip(SKIP_1) | instid1(VALU_DEP_4)
	v_add_f32_e32 v95, v99, v95
	v_fmamk_f32 v99, v70, 0x3ee437d1, v86
	v_add_f32_e32 v94, v94, v81
	v_sub_f32_e32 v102, v145, v108
	v_add_f32_e32 v81, v101, v97
	v_fmamk_f32 v97, v74, 0xbe8c1d8e, v92
	v_add_f32_e32 v95, v99, v95
	v_fmamk_f32 v99, v72, 0x3dbcf732, v90
	v_fma_f32 v101, 0x3f6eb680, v65, -v75
	v_dual_mul_f32 v133, 0x3dbcf732, v84 :: v_dual_add_f32 v94, v102, v94
	v_fma_f32 v102, 0x3f3d2fb0, v67, -v77
	s_delay_alu instid0(VALU_DEP_4) | instskip(NEXT) | instid1(VALU_DEP_4)
	v_add_f32_e32 v95, v99, v95
	v_add_f32_e32 v101, v46, v101
	v_dual_add_f32 v123, v124, v123 :: v_dual_add_f32 v124, v130, v125
	v_fma_f32 v25, 0x3f6eb680, v66, -v103
	s_delay_alu instid0(VALU_DEP_4) | instskip(SKIP_1) | instid1(VALU_DEP_4)
	v_add_f32_e32 v95, v97, v95
	v_fmamk_f32 v97, v79, 0xbf1a4643, v96
	v_add_f32_e32 v121, v121, v123
	v_fmac_f32_e32 v75, 0x3f6eb680, v65
	v_add_f32_e32 v23, v47, v25
	v_fma_f32 v24, 0x3f3d2fb0, v68, -v85
	v_add_f32_e32 v39, v97, v95
	v_add_f32_e32 v95, v102, v101
	v_fma_f32 v97, 0x3ee437d1, v69, -v78
	v_mul_f32_e32 v153, 0x3f3d2fb0, v88
	v_add_f32_e32 v121, v122, v121
	v_add_f32_e32 v25, v46, v75
	v_fmac_f32_e32 v77, 0x3f3d2fb0, v67
	v_add_f32_e32 v80, v97, v95
	v_add_f32_e32 v122, v126, v168
	v_dual_add_f32 v16, v22, v16 :: v_dual_add_f32 v19, v24, v23
	v_fma_f32 v22, 0x3ee437d1, v70, -v86
	s_delay_alu instid0(VALU_DEP_4)
	v_add_f32_e32 v33, v35, v80
	v_mul_f32_e32 v35, 0xbf4c4adb, v87
	v_add_f32_e32 v131, v144, v138
	v_add_f32_e32 v23, v77, v25
	v_fmac_f32_e32 v78, 0x3ee437d1, v69
	v_add_f32_e32 v32, v34, v33
	v_fma_f32 v33, 0xbf1a4643, v76, -v35
	v_sub_f32_e32 v125, v148, v129
	v_dual_add_f32 v129, v46, v116 :: v_dual_mul_f32 v146, 0x3f3d2fb0, v73
	v_add_f32_e32 v16, v16, v18
	s_delay_alu instid0(VALU_DEP_4) | instskip(NEXT) | instid1(VALU_DEP_4)
	v_add_f32_e32 v32, v33, v32
	v_add_f32_e32 v123, v125, v124
	s_delay_alu instid0(VALU_DEP_4)
	v_add_f32_e32 v117, v117, v129
	v_add_f32_e32 v17, v22, v19
	v_fma_f32 v18, 0x3dbcf732, v72, -v90
	v_add_f32_e32 v26, v27, v32
	v_fma_f32 v27, 0xbf7ba420, v88, -v28
	v_add_f32_e32 v117, v118, v117
	v_add_f32_e32 v118, v122, v121
	;; [unrolled: 1-line block ×3, first 2 shown]
	s_delay_alu instid0(VALU_DEP_4) | instskip(NEXT) | instid1(VALU_DEP_4)
	v_dual_add_f32 v19, v78, v23 :: v_dual_add_f32 v20, v27, v26
	v_dual_add_f32 v113, v113, v117 :: v_dual_add_f32 v8, v16, v8
	v_sub_f32_e32 v117, v146, v119
	v_add_f32_e32 v11, v18, v17
	v_fma_f32 v16, 0xbe8c1d8e, v74, -v92
	s_delay_alu instid0(VALU_DEP_4) | instskip(SKIP_2) | instid1(VALU_DEP_4)
	v_dual_add_f32 v17, v37, v19 :: v_dual_add_f32 v8, v8, v10
	v_fma_f32 v10, 0xbf1a4643, v79, -v96
	v_fmac_f32_e32 v35, 0xbf1a4643, v76
	v_add_f32_e32 v9, v16, v11
	s_delay_alu instid0(VALU_DEP_4) | instskip(SKIP_2) | instid1(VALU_DEP_4)
	v_add_f32_e32 v11, v36, v17
	v_dual_add_f32 v113, v117, v113 :: v_dual_add_f32 v4, v8, v4
	v_dual_add_f32 v119, v128, v161 :: v_dual_fmac_f32 v28, 0xbf7ba420, v88
	v_add_f32_e32 v7, v10, v9
	s_delay_alu instid0(VALU_DEP_3) | instskip(SKIP_2) | instid1(VALU_DEP_3)
	v_dual_add_f32 v9, v35, v11 :: v_dual_add_f32 v4, v4, v6
	v_mul_u32_u24_e32 v6, 0x88, v42
	v_dual_mul_f32 v140, 0x3f6eb680, v88 :: v_dual_add_f32 v31, v83, v39
	v_add_f32_e32 v9, v29, v9
	v_sub_f32_e32 v117, v151, v120
	s_delay_alu instid0(VALU_DEP_4)
	v_add3_u32 v10, 0, v6, v62
	v_fmamk_f32 v33, v89, 0xbf7ba420, v30
	v_fma_f32 v8, 0xbf59a7d5, v84, -v38
	v_add_f32_e32 v6, v28, v9
	v_add_f32_e32 v107, v117, v113
	v_sub_f32_e32 v113, v154, v114
	v_dual_add_f32 v118, v121, v118 :: v_dual_sub_f32 v99, v140, v111
	v_sub_f32_e32 v124, v153, v135
	v_add_f32_e32 v21, v33, v31
	s_delay_alu instid0(VALU_DEP_4)
	v_add_f32_e32 v105, v113, v107
	v_sub_f32_e32 v107, v136, v115
	v_add_f32_e32 v7, v8, v7
	v_fma_f32 v8, 0xbf7ba420, v89, -v30
	v_add_f32_e32 v106, v119, v118
	v_add_f32_e32 v80, v99, v94
	;; [unrolled: 1-line block ×3, first 2 shown]
	v_dual_add_f32 v116, v131, v137 :: v_dual_add_f32 v115, v124, v123
	v_add_f32_e32 v7, v8, v7
	ds_store_2addr_b64 v10, v[4:5], v[20:21] offset1:1
	ds_store_2addr_b64 v10, v[80:81], v[105:106] offset0:2 offset1:3
	ds_store_2addr_b64 v10, v[115:116], v[141:142] offset0:4 offset1:5
	;; [unrolled: 1-line block ×7, first 2 shown]
	ds_store_b64 v10, v[6:7] offset:128
.LBB0_14:
	s_or_b32 exec_lo, exec_lo, s1
	v_add_nc_u32_e32 v4, 0x400, v61
	s_waitcnt lgkmcnt(0)
	s_barrier
	buffer_gl0_inv
	ds_load_2addr_b64 v[8:11], v64 offset0:118 offset1:220
	ds_load_2addr_b64 v[20:23], v4 offset0:110 offset1:178
	;; [unrolled: 1-line block ×5, first 2 shown]
	ds_load_b64 v[28:29], v59
	ds_load_b64 v[30:31], v61 offset:6800
	v_cmp_gt_u32_e64 s0, 34, v42
	s_delay_alu instid0(VALU_DEP_1)
	s_and_saveexec_b32 s1, s0
	s_cbranch_execz .LBB0_16
; %bb.15:
	v_add_nc_u32_e32 v0, 0x600, v61
	v_add_nc_u32_e32 v1, 0x1500, v61
	ds_load_2addr_b64 v[12:15], v0 offset0:12 offset1:250
	ds_load_2addr_b64 v[0:3], v1 offset0:8 offset1:246
.LBB0_16:
	s_or_b32 exec_lo, exec_lo, s1
	v_and_b32_e32 v32, 0xff, v42
	v_add_nc_u16 v33, v42, 0x44
	s_delay_alu instid0(VALU_DEP_2) | instskip(NEXT) | instid1(VALU_DEP_2)
	v_mul_lo_u16 v32, 0xf1, v32
	v_and_b32_e32 v34, 0xff, v33
	s_delay_alu instid0(VALU_DEP_2) | instskip(SKIP_1) | instid1(VALU_DEP_3)
	v_lshrrev_b16 v35, 12, v32
	v_add_nc_u16 v32, v42, 0x88
	v_mul_lo_u16 v37, 0xf1, v34
	s_delay_alu instid0(VALU_DEP_3) | instskip(NEXT) | instid1(VALU_DEP_3)
	v_mul_lo_u16 v36, v35, 17
	v_and_b32_e32 v34, 0xff, v32
	s_delay_alu instid0(VALU_DEP_3) | instskip(NEXT) | instid1(VALU_DEP_3)
	v_lshrrev_b16 v43, 12, v37
	v_sub_nc_u16 v36, v42, v36
	s_delay_alu instid0(VALU_DEP_3) | instskip(NEXT) | instid1(VALU_DEP_2)
	v_mul_lo_u16 v37, 0xf1, v34
	v_and_b32_e32 v65, 0xff, v36
	s_delay_alu instid0(VALU_DEP_4) | instskip(NEXT) | instid1(VALU_DEP_3)
	v_mul_lo_u16 v36, v43, 17
	v_lshrrev_b16 v66, 12, v37
	s_delay_alu instid0(VALU_DEP_3) | instskip(NEXT) | instid1(VALU_DEP_3)
	v_mul_u32_u24_e32 v37, 3, v65
	v_sub_nc_u16 v33, v33, v36
	s_delay_alu instid0(VALU_DEP_3) | instskip(NEXT) | instid1(VALU_DEP_3)
	v_mul_lo_u16 v36, v66, 17
	v_lshlrev_b32_e32 v46, 3, v37
	s_delay_alu instid0(VALU_DEP_3) | instskip(NEXT) | instid1(VALU_DEP_3)
	v_and_b32_e32 v67, 0xff, v33
	v_sub_nc_u16 v33, v32, v36
	s_clause 0x1
	global_load_b128 v[36:39], v46, s[8:9]
	global_load_b64 v[54:55], v46, s[8:9] offset:16
	v_mul_u32_u24_e32 v47, 3, v67
	v_and_b32_e32 v68, 0xff, v33
	v_and_b32_e32 v66, 0xffff, v66
	s_delay_alu instid0(VALU_DEP_3) | instskip(NEXT) | instid1(VALU_DEP_3)
	v_lshlrev_b32_e32 v33, 3, v47
	v_mul_u32_u24_e32 v50, 3, v68
	v_lshlrev_b32_e32 v68, 3, v68
	global_load_b128 v[46:49], v33, s[8:9]
	v_lshlrev_b32_e32 v63, 3, v50
	s_clause 0x2
	global_load_b64 v[56:57], v33, s[8:9] offset:16
	global_load_b128 v[50:53], v63, s[8:9]
	global_load_b64 v[63:64], v63, s[8:9] offset:16
	v_add_nc_u32_e32 v33, 0xcc, v42
	v_and_b32_e32 v35, 0xffff, v35
	v_and_b32_e32 v43, 0xffff, v43
	s_load_b64 s[2:3], s[2:3], 0x0
	s_waitcnt vmcnt(0) lgkmcnt(0)
	v_and_b32_e32 v69, 0xffff, v33
	v_mad_u32_u24 v70, 0x220, v35, 0
	v_mad_u32_u24 v43, 0x220, v43, 0
	s_barrier
	buffer_gl0_inv
	v_mul_u32_u24_e32 v35, 0xf0f1, v69
	v_mul_f32_e32 v69, v55, v17
	v_mad_u32_u24 v66, 0x220, v66, 0
	v_mul_f32_e32 v55, v55, v16
	s_delay_alu instid0(VALU_DEP_2) | instskip(SKIP_2) | instid1(VALU_DEP_2)
	v_add3_u32 v66, v66, v68, v62
	v_mul_f32_e32 v68, v39, v11
	v_mul_f32_e32 v39, v39, v10
	v_fma_f32 v10, v38, v10, -v68
	s_delay_alu instid0(VALU_DEP_2) | instskip(SKIP_4) | instid1(VALU_DEP_2)
	v_fmac_f32_e32 v39, v38, v11
	v_fma_f32 v11, v54, v16, -v69
	v_mul_f32_e32 v16, v47, v23
	v_lshlrev_b32_e32 v67, 3, v67
	v_mul_f32_e32 v38, v57, v19
	v_add3_u32 v43, v43, v67, v62
	v_mul_f32_e32 v67, v37, v21
	v_mul_f32_e32 v37, v37, v20
	s_delay_alu instid0(VALU_DEP_2) | instskip(NEXT) | instid1(VALU_DEP_2)
	v_fma_f32 v20, v36, v20, -v67
	v_fmac_f32_e32 v37, v36, v21
	v_dual_mul_f32 v21, v47, v22 :: v_dual_mul_f32 v36, v49, v24
	v_fma_f32 v22, v46, v22, -v16
	v_mul_f32_e32 v47, v57, v18
	v_mul_f32_e32 v57, v31, v64
	;; [unrolled: 1-line block ×3, first 2 shown]
	v_fmac_f32_e32 v55, v54, v17
	v_mul_f32_e32 v17, v49, v25
	v_mul_f32_e32 v49, v51, v9
	v_dual_mul_f32 v51, v51, v8 :: v_dual_mul_f32 v54, v53, v27
	v_fmac_f32_e32 v64, v31, v63
	s_delay_alu instid0(VALU_DEP_4) | instskip(SKIP_1) | instid1(VALU_DEP_4)
	v_fma_f32 v16, v48, v24, -v17
	v_fma_f32 v17, v56, v18, -v38
	v_fmac_f32_e32 v51, v50, v9
	v_sub_f32_e32 v9, v20, v11
	v_dual_sub_f32 v24, v28, v10 :: v_dual_lshlrev_b32 v65, 3, v65
	v_dual_fmac_f32 v36, v48, v25 :: v_dual_sub_f32 v25, v29, v39
	s_delay_alu instid0(VALU_DEP_3) | instskip(SKIP_2) | instid1(VALU_DEP_4)
	v_fma_f32 v10, v20, 2.0, -v9
	v_dual_sub_f32 v20, v22, v17 :: v_dual_fmac_f32 v47, v56, v19
	v_fma_f32 v19, v52, v26, -v54
	v_add_f32_e32 v9, v25, v9
	s_delay_alu instid0(VALU_DEP_3) | instskip(NEXT) | instid1(VALU_DEP_3)
	v_fma_f32 v22, v22, 2.0, -v20
	v_sub_f32_e32 v31, v6, v19
	v_mul_f32_e32 v53, v53, v26
	v_fma_f32 v26, v28, 2.0, -v24
	v_dual_sub_f32 v28, v4, v16 :: v_dual_fmac_f32 v21, v46, v23
	v_fma_f32 v23, v30, v63, -v57
	v_fma_f32 v17, v25, 2.0, -v9
	s_delay_alu instid0(VALU_DEP_4) | instskip(NEXT) | instid1(VALU_DEP_4)
	v_sub_f32_e32 v10, v26, v10
	v_sub_f32_e32 v30, v21, v47
	v_fma_f32 v18, v50, v8, -v49
	v_sub_f32_e32 v8, v37, v55
	v_add3_u32 v65, v70, v65, v62
	s_delay_alu instid0(VALU_DEP_4) | instskip(NEXT) | instid1(VALU_DEP_4)
	v_fma_f32 v21, v21, 2.0, -v30
	v_sub_f32_e32 v19, v18, v23
	v_sub_f32_e32 v23, v51, v64
	v_fma_f32 v11, v37, 2.0, -v8
	v_fma_f32 v37, v4, 2.0, -v28
	v_sub_f32_e32 v4, v28, v30
	v_fma_f32 v30, v6, 2.0, -v31
	v_sub_f32_e32 v6, v31, v23
	v_fmac_f32_e32 v53, v52, v27
	v_fma_f32 v27, v29, 2.0, -v25
	v_sub_f32_e32 v29, v5, v36
	v_sub_f32_e32 v8, v24, v8
	v_fma_f32 v25, v51, 2.0, -v23
	v_sub_f32_e32 v36, v7, v53
	v_sub_f32_e32 v11, v27, v11
	v_fma_f32 v38, v5, 2.0, -v29
	v_fma_f32 v16, v24, 2.0, -v8
	;; [unrolled: 1-line block ×4, first 2 shown]
	v_add_f32_e32 v5, v29, v20
	v_dual_sub_f32 v20, v37, v22 :: v_dual_sub_f32 v21, v38, v21
	s_delay_alu instid0(VALU_DEP_4) | instskip(NEXT) | instid1(VALU_DEP_4)
	v_dual_add_f32 v7, v36, v19 :: v_dual_sub_f32 v24, v30, v24
	v_sub_f32_e32 v25, v39, v25
	v_fma_f32 v18, v26, 2.0, -v10
	v_fma_f32 v19, v27, 2.0, -v11
	;; [unrolled: 1-line block ×10, first 2 shown]
	ds_store_2addr_b64 v65, v[10:11], v[8:9] offset0:34 offset1:51
	ds_store_2addr_b64 v65, v[18:19], v[16:17] offset1:17
	ds_store_2addr_b64 v43, v[20:21], v[4:5] offset0:34 offset1:51
	ds_store_2addr_b64 v43, v[28:29], v[22:23] offset1:17
	ds_store_2addr_b64 v66, v[30:31], v[26:27] offset1:17
	ds_store_2addr_b64 v66, v[24:25], v[6:7] offset0:34 offset1:51
	s_and_saveexec_b32 s1, s0
	s_cbranch_execz .LBB0_18
; %bb.17:
	v_lshrrev_b32_e32 v4, 20, v35
	s_delay_alu instid0(VALU_DEP_1) | instskip(NEXT) | instid1(VALU_DEP_1)
	v_mul_lo_u16 v4, v4, 17
	v_sub_nc_u16 v4, v33, v4
	s_delay_alu instid0(VALU_DEP_1) | instskip(NEXT) | instid1(VALU_DEP_1)
	v_and_b32_e32 v10, 0xffff, v4
	v_mul_u32_u24_e32 v4, 3, v10
	s_delay_alu instid0(VALU_DEP_1)
	v_lshlrev_b32_e32 v8, 3, v4
	s_clause 0x1
	global_load_b128 v[4:7], v8, s[8:9]
	global_load_b64 v[8:9], v8, s[8:9] offset:16
	s_waitcnt vmcnt(1)
	v_dual_mul_f32 v16, v0, v7 :: v_dual_and_b32 v11, 0xff, v33
	s_delay_alu instid0(VALU_DEP_1)
	v_mul_lo_u16 v11, 0xf1, v11
	v_mul_f32_e32 v17, v15, v5
	s_waitcnt vmcnt(0)
	v_dual_mul_f32 v18, v3, v9 :: v_dual_mul_f32 v7, v1, v7
	v_mul_f32_e32 v5, v14, v5
	v_dual_mul_f32 v9, v2, v9 :: v_dual_fmac_f32 v16, v1, v6
	v_lshrrev_b16 v11, 12, v11
	v_fma_f32 v1, v14, v4, -v17
	v_fma_f32 v0, v0, v6, -v7
	s_delay_alu instid0(VALU_DEP_4) | instskip(SKIP_3) | instid1(VALU_DEP_3)
	v_dual_fmac_f32 v9, v3, v8 :: v_dual_lshlrev_b32 v10, 3, v10
	v_fma_f32 v2, v2, v8, -v18
	v_fmac_f32_e32 v5, v15, v4
	v_dual_sub_f32 v4, v13, v16 :: v_dual_and_b32 v3, 0xffff, v11
	v_dual_sub_f32 v7, v12, v0 :: v_dual_sub_f32 v0, v1, v2
	s_delay_alu instid0(VALU_DEP_3) | instskip(NEXT) | instid1(VALU_DEP_3)
	v_sub_f32_e32 v6, v5, v9
	v_mad_u32_u24 v8, 0x220, v3, 0
	s_delay_alu instid0(VALU_DEP_4) | instskip(NEXT) | instid1(VALU_DEP_4)
	v_fma_f32 v9, v13, 2.0, -v4
	v_fma_f32 v11, v12, 2.0, -v7
	s_delay_alu instid0(VALU_DEP_4) | instskip(SKIP_3) | instid1(VALU_DEP_3)
	v_fma_f32 v2, v5, 2.0, -v6
	v_fma_f32 v5, v1, 2.0, -v0
	v_add_f32_e32 v1, v4, v0
	v_add3_u32 v8, v8, v10, v62
	v_dual_sub_f32 v3, v9, v2 :: v_dual_sub_f32 v2, v11, v5
	v_sub_f32_e32 v0, v7, v6
	s_delay_alu instid0(VALU_DEP_4) | instskip(NEXT) | instid1(VALU_DEP_3)
	v_fma_f32 v5, v4, 2.0, -v1
	v_fma_f32 v6, v11, 2.0, -v2
	s_delay_alu instid0(VALU_DEP_3)
	v_fma_f32 v4, v7, 2.0, -v0
	v_fma_f32 v7, v9, 2.0, -v3
	ds_store_2addr_b64 v8, v[6:7], v[4:5] offset1:17
	ds_store_2addr_b64 v8, v[2:3], v[0:1] offset0:34 offset1:51
.LBB0_18:
	s_or_b32 exec_lo, exec_lo, s1
	v_mul_lo_u16 v0, 0x79, v34
	v_dual_mov_b32 v43, 0 :: v_dual_add_nc_u32 v4, 0x110, v42
	v_lshrrev_b32_e32 v8, 22, v35
	s_waitcnt lgkmcnt(0)
	s_delay_alu instid0(VALU_DEP_3) | instskip(NEXT) | instid1(VALU_DEP_3)
	v_lshrrev_b16 v2, 13, v0
	v_lshlrev_b64 v[0:1], 3, v[42:43]
	s_barrier
	v_mul_lo_u16 v8, 0x44, v8
	buffer_gl0_inv
	v_mul_lo_u16 v7, 0x44, v2
	v_mul_u32_u24_e32 v55, 6, v42
	v_add_co_u32 v2, s0, s8, v0
	s_delay_alu instid0(VALU_DEP_1) | instskip(NEXT) | instid1(VALU_DEP_4)
	v_add_co_ci_u32_e64 v3, s0, s9, v1, s0
	v_sub_nc_u16 v7, v32, v7
	s_add_u32 s1, s8, 0x1d38
	s_addc_u32 s4, s9, 0
	global_load_b64 v[29:30], v[2:3], off offset:408
	v_add_nc_u32_e32 v5, 0x154, v42
	v_add_nc_u32_e32 v6, 0x198, v42
	v_and_b32_e32 v9, 0xffff, v4
	v_sub_nc_u16 v2, v33, v8
	v_and_b32_e32 v7, 0xff, v7
	v_and_b32_e32 v10, 0xffff, v5
	;; [unrolled: 1-line block ×3, first 2 shown]
	v_mul_u32_u24_e32 v9, 0xf0f1, v9
	v_and_b32_e32 v2, 0xffff, v2
	v_lshlrev_b32_e32 v21, 3, v7
	v_mul_u32_u24_e32 v10, 0xf0f1, v10
	v_mul_u32_u24_e32 v3, 0xf0f1, v11
	v_lshrrev_b32_e32 v8, 22, v9
	v_lshlrev_b32_e32 v22, 3, v2
	global_load_b64 v[31:32], v21, s[8:9] offset:408
	v_lshrrev_b32_e32 v9, 22, v10
	v_lshrrev_b32_e32 v3, 22, v3
	v_mul_lo_u16 v8, 0x44, v8
	global_load_b64 v[33:34], v22, s[8:9] offset:408
	v_add3_u32 v56, 0, v22, v62
	v_mul_lo_u16 v7, 0x44, v9
	v_mul_lo_u16 v2, 0x44, v3
	v_sub_nc_u16 v3, v4, v8
	v_add3_u32 v57, 0, v21, v62
	s_mov_b32 s5, exec_lo
	v_sub_nc_u16 v4, v5, v7
	v_sub_nc_u16 v2, v6, v2
	v_and_b32_e32 v3, 0xffff, v3
	s_delay_alu instid0(VALU_DEP_3) | instskip(NEXT) | instid1(VALU_DEP_3)
	v_and_b32_e32 v4, 0xffff, v4
	v_and_b32_e32 v2, 0xffff, v2
	s_delay_alu instid0(VALU_DEP_3) | instskip(SKIP_1) | instid1(VALU_DEP_4)
	v_lshlrev_b32_e32 v39, 3, v3
	v_add_nc_u32_e32 v3, 0xc00, v61
	v_lshlrev_b32_e32 v43, 3, v4
	s_delay_alu instid0(VALU_DEP_4)
	v_lshlrev_b32_e32 v52, 3, v2
	s_clause 0x2
	global_load_b64 v[35:36], v39, s[8:9] offset:408
	global_load_b64 v[37:38], v43, s[8:9] offset:408
	;; [unrolled: 1-line block ×3, first 2 shown]
	ds_load_2addr_b64 v[5:8], v61 offset0:68 offset1:136
	ds_load_2addr_b64 v[9:12], v3 offset0:92 offset1:160
	ds_load_b64 v[48:49], v59
	ds_load_b64 v[50:51], v61 offset:7072
	v_add_nc_u32_e32 v54, 0x1000, v61
	v_add_nc_u32_e32 v4, 0x400, v61
	ds_load_2addr_b64 v[13:16], v54 offset0:100 offset1:168
	ds_load_2addr_b64 v[17:20], v4 offset0:76 offset1:144
	v_add_nc_u32_e32 v2, 0x1400, v61
	v_add_nc_u32_e32 v53, 0x800, v61
	v_add3_u32 v39, 0, v39, v62
	v_add3_u32 v43, 0, v43, v62
	;; [unrolled: 1-line block ×3, first 2 shown]
	s_waitcnt vmcnt(5) lgkmcnt(4)
	v_mul_f32_e32 v63, v30, v9
	v_mul_f32_e32 v62, v30, v10
	;; [unrolled: 1-line block ×3, first 2 shown]
	s_delay_alu instid0(VALU_DEP_3) | instskip(NEXT) | instid1(VALU_DEP_3)
	v_dual_mul_f32 v30, v30, v11 :: v_dual_fmac_f32 v63, v29, v10
	v_fma_f32 v9, v29, v9, -v62
	s_delay_alu instid0(VALU_DEP_3) | instskip(NEXT) | instid1(VALU_DEP_3)
	v_fma_f32 v11, v29, v11, -v64
	v_fmac_f32_e32 v30, v29, v12
	s_waitcnt lgkmcnt(3)
	s_delay_alu instid0(VALU_DEP_3) | instskip(NEXT) | instid1(VALU_DEP_2)
	v_dual_sub_f32 v10, v49, v63 :: v_dual_sub_f32 v9, v48, v9
	v_dual_sub_f32 v11, v5, v11 :: v_dual_sub_f32 v12, v6, v30
	s_waitcnt vmcnt(4) lgkmcnt(1)
	v_mul_f32_e32 v62, v32, v14
	v_mul_f32_e32 v32, v32, v13
	v_fma_f32 v29, v48, 2.0, -v9
	v_fma_f32 v30, v49, 2.0, -v10
	s_waitcnt vmcnt(3)
	v_mul_f32_e32 v63, v34, v16
	v_mul_f32_e32 v34, v34, v15
	ds_load_2addr_b64 v[21:24], v2 offset0:108 offset1:176
	ds_load_2addr_b64 v[25:28], v53 offset0:84 offset1:152
	v_fma_f32 v5, v5, 2.0, -v11
	v_fma_f32 v6, v6, 2.0, -v12
	v_add_nc_u32_e32 v57, 0x800, v57
	s_waitcnt vmcnt(0) lgkmcnt(0)
	s_barrier
	buffer_gl0_inv
	v_fma_f32 v13, v31, v13, -v62
	v_fmac_f32_e32 v32, v31, v14
	v_fma_f32 v14, v33, v15, -v63
	ds_store_2addr_b64 v61, v[29:30], v[9:10] offset1:68
	ds_store_2addr_b64 v61, v[5:6], v[11:12] offset0:136 offset1:204
	v_dual_fmac_f32 v34, v33, v16 :: v_dual_lshlrev_b32 v55, 3, v55
	v_add_nc_u32_e32 v39, 0x1000, v39
	v_dual_sub_f32 v5, v7, v13 :: v_dual_add_nc_u32 v56, 0x800, v56
	v_sub_f32_e32 v9, v17, v14
	s_delay_alu instid0(VALU_DEP_4)
	v_dual_sub_f32 v10, v18, v34 :: v_dual_add_nc_u32 v43, 0x1000, v43
	v_sub_f32_e32 v6, v8, v32
	v_mul_f32_e32 v11, v22, v36
	v_dual_mul_f32 v15, v21, v36 :: v_dual_mul_f32 v12, v24, v38
	v_mul_f32_e32 v16, v23, v38
	v_mul_f32_e32 v29, v51, v47
	s_delay_alu instid0(VALU_DEP_4) | instskip(NEXT) | instid1(VALU_DEP_4)
	v_fma_f32 v13, v21, v35, -v11
	v_fmac_f32_e32 v15, v22, v35
	v_fma_f32 v21, v23, v37, -v12
	v_mul_f32_e32 v30, v50, v47
	v_fma_f32 v22, v50, v46, -v29
	v_fmac_f32_e32 v16, v24, v37
	s_delay_alu instid0(VALU_DEP_4) | instskip(NEXT) | instid1(VALU_DEP_4)
	v_dual_sub_f32 v14, v20, v15 :: v_dual_sub_f32 v15, v25, v21
	v_fmac_f32_e32 v30, v51, v46
	v_dual_sub_f32 v13, v19, v13 :: v_dual_add_nc_u32 v52, 0x1800, v52
	v_fma_f32 v11, v17, 2.0, -v9
	v_dual_sub_f32 v17, v27, v22 :: v_dual_sub_f32 v16, v26, v16
	v_fma_f32 v12, v18, 2.0, -v10
	v_sub_f32_e32 v18, v28, v30
	v_fma_f32 v7, v7, 2.0, -v5
	v_fma_f32 v8, v8, 2.0, -v6
	;; [unrolled: 1-line block ×8, first 2 shown]
	ds_store_2addr_b64 v57, v[7:8], v[5:6] offset0:16 offset1:84
	ds_store_2addr_b64 v56, v[11:12], v[9:10] offset0:152 offset1:220
	;; [unrolled: 1-line block ×5, first 2 shown]
	v_add_co_u32 v19, s0, s8, v55
	s_delay_alu instid0(VALU_DEP_1) | instskip(SKIP_1) | instid1(VALU_DEP_2)
	v_add_co_ci_u32_e64 v20, null, s9, 0, s0
	s_waitcnt lgkmcnt(0)
	v_add_co_u32 v17, s0, 0x1000, v19
	s_delay_alu instid0(VALU_DEP_1)
	v_add_co_ci_u32_e64 v18, s0, 0, v20, s0
	s_barrier
	buffer_gl0_inv
	s_clause 0x1
	global_load_b128 v[5:8], v55, s[8:9] offset:952
	global_load_b128 v[9:12], v55, s[8:9] offset:968
	v_add_co_u32 v25, s0, 0x1078, v19
	s_delay_alu instid0(VALU_DEP_1)
	v_add_co_ci_u32_e64 v26, s0, 0, v20, s0
	s_clause 0x3
	global_load_b128 v[13:16], v55, s[8:9] offset:984
	global_load_b128 v[17:20], v[17:18], off offset:120
	global_load_b128 v[21:24], v[25:26], off offset:16
	;; [unrolled: 1-line block ×3, first 2 shown]
	ds_load_2addr_b64 v[29:32], v61 offset0:68 offset1:136
	ds_load_2addr_b64 v[33:36], v4 offset0:76 offset1:144
	ds_load_2addr_b64 v[46:49], v53 offset0:84 offset1:152
	ds_load_2addr_b64 v[50:53], v3 offset0:92 offset1:160
	ds_load_2addr_b64 v[54:57], v54 offset0:100 offset1:168
	ds_load_2addr_b64 v[62:65], v2 offset0:108 offset1:176
	ds_load_b64 v[37:38], v59
	ds_load_b64 v[66:67], v61 offset:7072
	s_waitcnt vmcnt(0) lgkmcnt(0)
	s_barrier
	buffer_gl0_inv
	v_mul_f32_e32 v39, v6, v32
	v_dual_mul_f32 v6, v6, v31 :: v_dual_mul_f32 v43, v8, v36
	v_mul_f32_e32 v8, v8, v35
	v_mul_f32_e32 v69, v12, v53
	s_delay_alu instid0(VALU_DEP_4)
	v_fma_f32 v31, v5, v31, -v39
	v_mul_f32_e32 v12, v12, v52
	v_mul_f32_e32 v75, v55, v24
	v_fmac_f32_e32 v6, v5, v32
	v_fma_f32 v5, v7, v35, -v43
	v_mul_f32_e32 v70, v14, v57
	v_mul_f32_e32 v14, v14, v56
	;; [unrolled: 1-line block ×3, first 2 shown]
	v_fmac_f32_e32 v8, v7, v36
	v_dual_mul_f32 v71, v65, v16 :: v_dual_mul_f32 v72, v34, v18
	s_delay_alu instid0(VALU_DEP_4) | instskip(SKIP_4) | instid1(VALU_DEP_4)
	v_fmac_f32_e32 v14, v13, v57
	v_mul_f32_e32 v68, v10, v49
	v_mul_f32_e32 v10, v10, v48
	v_dual_mul_f32 v18, v33, v18 :: v_dual_mul_f32 v73, v47, v20
	v_fmac_f32_e32 v12, v11, v53
	v_fma_f32 v7, v9, v48, -v68
	s_delay_alu instid0(VALU_DEP_4)
	v_fmac_f32_e32 v10, v9, v49
	v_fma_f32 v9, v11, v52, -v69
	v_mul_f32_e32 v16, v64, v16
	v_mul_f32_e32 v20, v46, v20
	v_fma_f32 v11, v13, v56, -v70
	v_fma_f32 v13, v64, v15, -v71
	v_fmac_f32_e32 v18, v34, v17
	v_fmac_f32_e32 v16, v65, v15
	v_fma_f32 v15, v33, v17, -v72
	v_fma_f32 v17, v46, v19, -v73
	v_mul_f32_e32 v74, v51, v22
	v_mul_f32_e32 v22, v50, v22
	v_add_f32_e32 v32, v6, v16
	v_sub_f32_e32 v6, v6, v16
	v_add_f32_e32 v16, v5, v11
	s_delay_alu instid0(VALU_DEP_4)
	v_dual_sub_f32 v5, v5, v11 :: v_dual_fmac_f32 v22, v51, v21
	v_add_f32_e32 v11, v7, v9
	v_sub_f32_e32 v7, v9, v7
	v_dual_sub_f32 v9, v12, v10 :: v_dual_fmac_f32 v20, v47, v19
	v_fma_f32 v19, v50, v21, -v74
	v_fma_f32 v21, v54, v23, -v75
	v_mul_f32_e32 v24, v54, v24
	v_mul_f32_e32 v76, v63, v26
	v_dual_mul_f32 v26, v62, v26 :: v_dual_add_f32 v35, v7, v5
	v_sub_f32_e32 v39, v7, v5
	s_delay_alu instid0(VALU_DEP_4) | instskip(SKIP_4) | instid1(VALU_DEP_4)
	v_fmac_f32_e32 v24, v55, v23
	v_mul_f32_e32 v28, v66, v28
	v_fma_f32 v23, v62, v25, -v76
	v_fmac_f32_e32 v26, v63, v25
	v_fma_f32 v25, v66, v27, -v77
	v_fmac_f32_e32 v28, v67, v27
	v_add_f32_e32 v27, v31, v13
	v_sub_f32_e32 v13, v31, v13
	s_delay_alu instid0(VALU_DEP_2) | instskip(NEXT) | instid1(VALU_DEP_2)
	v_sub_f32_e32 v33, v16, v27
	v_sub_f32_e32 v7, v13, v7
	v_add_f32_e32 v31, v8, v14
	v_sub_f32_e32 v8, v8, v14
	v_sub_f32_e32 v46, v5, v13
	v_add_f32_e32 v13, v35, v13
	s_delay_alu instid0(VALU_DEP_3)
	v_sub_f32_e32 v43, v9, v8
	v_add_f32_e32 v14, v10, v12
	v_add_f32_e32 v10, v15, v25
	v_sub_f32_e32 v15, v15, v25
	v_add_f32_e32 v25, v17, v23
	v_sub_f32_e32 v17, v17, v23
	v_add_f32_e32 v23, v19, v21
	v_sub_f32_e32 v19, v21, v19
	v_sub_f32_e32 v21, v24, v22
	v_dual_add_f32 v5, v25, v10 :: v_dual_add_f32 v12, v18, v28
	v_sub_f32_e32 v18, v18, v28
	v_dual_sub_f32 v48, v25, v10 :: v_dual_sub_f32 v25, v23, v25
	v_add_f32_e32 v50, v19, v17
	v_sub_f32_e32 v52, v19, v17
	v_dual_sub_f32 v19, v15, v19 :: v_dual_add_f32 v36, v9, v8
	v_sub_f32_e32 v9, v6, v9
	v_dual_sub_f32 v17, v17, v15 :: v_dual_add_f32 v28, v20, v26
	v_dual_sub_f32 v20, v20, v26 :: v_dual_add_f32 v15, v50, v15
	v_sub_f32_e32 v34, v31, v32
	s_delay_alu instid0(VALU_DEP_2)
	v_add_f32_e32 v51, v21, v20
	v_sub_f32_e32 v53, v21, v20
	v_add_f32_e32 v26, v22, v24
	v_add_f32_e32 v22, v16, v27
	v_dual_add_f32 v24, v31, v32 :: v_dual_sub_f32 v31, v14, v31
	v_dual_sub_f32 v27, v27, v11 :: v_dual_sub_f32 v32, v32, v14
	v_sub_f32_e32 v16, v11, v16
	s_delay_alu instid0(VALU_DEP_4) | instskip(NEXT) | instid1(VALU_DEP_4)
	v_add_f32_e32 v11, v11, v22
	v_dual_add_f32 v22, v36, v6 :: v_dual_mul_f32 v35, 0x3d64c772, v31
	v_mul_f32_e32 v36, 0xbf08b237, v39
	v_dual_mul_f32 v39, 0xbf08b237, v43 :: v_dual_sub_f32 v20, v20, v18
	v_dual_sub_f32 v21, v18, v21 :: v_dual_add_f32 v18, v51, v18
	v_dual_mul_f32 v51, 0xbf08b237, v52 :: v_dual_mul_f32 v52, 0xbf08b237, v53
	v_dual_mul_f32 v53, 0x3f5ff5aa, v17 :: v_dual_add_f32 v14, v14, v24
	s_delay_alu instid0(VALU_DEP_4)
	v_mul_f32_e32 v55, 0x3f5ff5aa, v20
	v_mul_f32_e32 v43, 0x3f5ff5aa, v46
	v_fma_f32 v35, 0x3f3bfb3b, v34, -v35
	v_dual_mul_f32 v24, 0x3f4a47b2, v27 :: v_dual_mul_f32 v27, 0x3f4a47b2, v32
	v_sub_f32_e32 v8, v8, v6
	v_dual_sub_f32 v10, v10, v23 :: v_dual_add_f32 v23, v23, v5
	v_add_f32_e32 v47, v28, v12
	v_sub_f32_e32 v49, v28, v12
	v_sub_f32_e32 v12, v12, v26
	s_delay_alu instid0(VALU_DEP_4)
	v_dual_mul_f32 v10, 0x3f4a47b2, v10 :: v_dual_add_f32 v5, v11, v37
	v_sub_f32_e32 v28, v26, v28
	v_dual_add_f32 v6, v14, v38 :: v_dual_fmamk_f32 v31, v31, 0x3d64c772, v27
	v_mul_f32_e32 v54, 0x3f5ff5aa, v8
	v_fma_f32 v38, 0xbeae86e6, v7, -v43
	v_fmamk_f32 v43, v21, 0x3eae86e6, v52
	v_mul_f32_e32 v12, 0x3f4a47b2, v12
	v_dual_add_f32 v26, v26, v47 :: v_dual_mul_f32 v47, 0x3d64c772, v25
	v_fma_f32 v27, 0xbf3bfb3b, v34, -v27
	v_fmamk_f32 v34, v9, 0x3eae86e6, v39
	v_fma_f32 v37, 0x3f5ff5aa, v8, -v39
	v_fma_f32 v39, 0xbeae86e6, v9, -v54
	v_fmamk_f32 v9, v25, 0x3d64c772, v10
	v_fmamk_f32 v11, v11, 0xbf955555, v5
	v_dual_fmamk_f32 v25, v28, 0x3d64c772, v12 :: v_dual_mul_f32 v32, 0x3d64c772, v16
	v_fmamk_f32 v16, v16, 0x3d64c772, v24
	v_fma_f32 v24, 0xbf3bfb3b, v33, -v24
	v_mul_f32_e32 v50, 0x3d64c772, v28
	v_fmac_f32_e32 v38, 0x3ee1c552, v13
	v_fma_f32 v32, 0x3f3bfb3b, v33, -v32
	v_fmamk_f32 v33, v7, 0x3eae86e6, v36
	v_fma_f32 v36, 0x3f5ff5aa, v46, -v36
	v_add_f32_e32 v7, v23, v29
	v_fma_f32 v28, 0x3f3bfb3b, v48, -v47
	v_fma_f32 v10, 0xbf3bfb3b, v48, -v10
	v_fmac_f32_e32 v33, 0x3ee1c552, v13
	v_fma_f32 v47, 0x3f5ff5aa, v20, -v52
	v_fmac_f32_e32 v36, 0x3ee1c552, v13
	v_fmamk_f32 v13, v23, 0xbf955555, v7
	v_fma_f32 v46, 0x3f5ff5aa, v17, -v51
	v_fma_f32 v48, 0xbeae86e6, v19, -v53
	;; [unrolled: 1-line block ×3, first 2 shown]
	v_add_f32_e32 v20, v24, v11
	v_add_f32_e32 v23, v28, v13
	v_fmac_f32_e32 v47, 0x3ee1c552, v18
	v_fmac_f32_e32 v43, 0x3ee1c552, v18
	v_add_f32_e32 v8, v26, v30
	v_fmamk_f32 v30, v19, 0x3eae86e6, v51
	v_fmac_f32_e32 v46, 0x3ee1c552, v15
	v_fmac_f32_e32 v48, 0x3ee1c552, v15
	s_delay_alu instid0(VALU_DEP_4) | instskip(NEXT) | instid1(VALU_DEP_4)
	v_fmamk_f32 v17, v26, 0xbf955555, v8
	v_fmac_f32_e32 v30, 0x3ee1c552, v15
	v_dual_add_f32 v15, v16, v11 :: v_dual_fmamk_f32 v14, v14, 0xbf955555, v6
	s_delay_alu instid0(VALU_DEP_3) | instskip(SKIP_1) | instid1(VALU_DEP_3)
	v_dual_fmac_f32 v39, 0x3ee1c552, v22 :: v_dual_add_f32 v24, v29, v17
	v_fmac_f32_e32 v37, 0x3ee1c552, v22
	v_add_f32_e32 v16, v31, v14
	v_add_f32_e32 v19, v35, v14
	v_dual_add_f32 v14, v27, v14 :: v_dual_add_f32 v27, v9, v13
	v_add_f32_e32 v31, v25, v17
	v_add_f32_e32 v25, v10, v13
	v_fma_f32 v12, 0xbf3bfb3b, v49, -v12
	v_fma_f32 v49, 0xbeae86e6, v21, -v55
	v_add_f32_e32 v10, v36, v19
	v_sub_f32_e32 v13, v20, v39
	v_sub_f32_e32 v21, v23, v47
	v_add_f32_e32 v23, v47, v23
	v_dual_fmac_f32 v49, 0x3ee1c552, v18 :: v_dual_add_f32 v26, v12, v17
	v_add_f32_e32 v17, v43, v27
	v_dual_sub_f32 v27, v27, v43 :: v_dual_fmac_f32 v34, 0x3ee1c552, v22
	v_add_f32_e32 v18, v32, v11
	s_delay_alu instid0(VALU_DEP_4)
	v_dual_sub_f32 v12, v19, v36 :: v_dual_add_f32 v19, v49, v25
	ds_store_2addr_b64 v61, v[5:6], v[7:8] offset1:68
	v_dual_add_f32 v5, v34, v15 :: v_dual_sub_f32 v6, v16, v33
	v_dual_add_f32 v7, v39, v20 :: v_dual_sub_f32 v8, v14, v38
	v_sub_f32_e32 v9, v18, v37
	v_add_f32_e32 v11, v37, v18
	v_add_f32_e32 v14, v38, v14
	v_dual_sub_f32 v15, v15, v34 :: v_dual_add_f32 v16, v33, v16
	v_sub_f32_e32 v18, v31, v30
	v_sub_f32_e32 v20, v26, v48
	v_add_f32_e32 v22, v46, v24
	v_dual_sub_f32 v24, v24, v46 :: v_dual_sub_f32 v25, v25, v49
	v_add_f32_e32 v26, v48, v26
	v_add_f32_e32 v28, v30, v31
	ds_store_2addr_b64 v4, v[5:6], v[7:8] offset0:8 offset1:144
	ds_store_2addr_b64 v3, v[9:10], v[11:12] offset0:24 offset1:160
	;; [unrolled: 1-line block ×6, first 2 shown]
	s_waitcnt lgkmcnt(0)
	s_barrier
	buffer_gl0_inv
	ds_load_b64 v[4:5], v59
	v_sub_nc_u32_e32 v6, v58, v60
                                        ; implicit-def: $vgpr2
                                        ; implicit-def: $vgpr7
                                        ; implicit-def: $vgpr8
	v_cmpx_ne_u32_e32 0, v42
	s_xor_b32 s5, exec_lo, s5
	s_cbranch_execz .LBB0_20
; %bb.19:
	v_add_co_u32 v2, s0, s1, v0
	s_delay_alu instid0(VALU_DEP_1)
	v_add_co_ci_u32_e64 v3, s0, s4, v1, s0
	global_load_b64 v[9:10], v[2:3], off
	ds_load_b64 v[2:3], v6 offset:7616
	s_waitcnt lgkmcnt(0)
	v_dual_sub_f32 v7, v4, v2 :: v_dual_add_f32 v8, v3, v5
	v_dual_sub_f32 v3, v5, v3 :: v_dual_add_f32 v2, v2, v4
	s_delay_alu instid0(VALU_DEP_2) | instskip(SKIP_1) | instid1(VALU_DEP_1)
	v_dual_mul_f32 v5, 0.5, v7 :: v_dual_mul_f32 v4, 0.5, v8
	s_waitcnt vmcnt(0)
	v_dual_mul_f32 v3, 0.5, v3 :: v_dual_mul_f32 v8, v10, v5
	s_delay_alu instid0(VALU_DEP_1) | instskip(SKIP_1) | instid1(VALU_DEP_3)
	v_fma_f32 v11, v4, v10, v3
	v_fma_f32 v3, v4, v10, -v3
	v_fma_f32 v7, 0.5, v2, v8
	v_fma_f32 v2, v2, 0.5, -v8
	s_delay_alu instid0(VALU_DEP_4) | instskip(NEXT) | instid1(VALU_DEP_4)
	v_fma_f32 v8, -v9, v5, v11
	v_fma_f32 v3, -v9, v5, v3
	s_delay_alu instid0(VALU_DEP_4) | instskip(NEXT) | instid1(VALU_DEP_4)
	v_fmac_f32_e32 v7, v9, v4
	v_fma_f32 v2, -v9, v4, v2
                                        ; implicit-def: $vgpr4_vgpr5
.LBB0_20:
	s_and_not1_saveexec_b32 s0, s5
	s_cbranch_execz .LBB0_22
; %bb.21:
	ds_load_b32 v3, v58 offset:3812
	s_waitcnt lgkmcnt(1)
	v_dual_add_f32 v7, v4, v5 :: v_dual_mov_b32 v8, 0
	v_sub_f32_e32 v2, v4, v5
	s_waitcnt lgkmcnt(0)
	v_xor_b32_e32 v4, 0x80000000, v3
	v_mov_b32_e32 v3, 0
	ds_store_b32 v58, v4 offset:3812
.LBB0_22:
	s_or_b32 exec_lo, exec_lo, s0
	v_add_co_u32 v0, s0, s1, v0
	s_delay_alu instid0(VALU_DEP_1)
	v_add_co_ci_u32_e64 v1, s0, s4, v1, s0
	s_waitcnt lgkmcnt(0)
	s_clause 0x5
	global_load_b64 v[4:5], v[0:1], off offset:544
	global_load_b64 v[9:10], v[0:1], off offset:1088
	;; [unrolled: 1-line block ×6, first 2 shown]
	ds_store_2addr_b32 v59, v7, v8 offset1:1
	ds_store_b64 v6, v[2:3] offset:7616
	ds_load_b64 v[2:3], v59 offset:544
	ds_load_b64 v[7:8], v6 offset:7072
	s_waitcnt lgkmcnt(0)
	v_dual_sub_f32 v17, v2, v7 :: v_dual_add_f32 v18, v3, v8
	v_dual_sub_f32 v3, v3, v8 :: v_dual_add_f32 v2, v2, v7
	s_delay_alu instid0(VALU_DEP_2) | instskip(NEXT) | instid1(VALU_DEP_2)
	v_dual_mul_f32 v8, 0.5, v17 :: v_dual_mul_f32 v17, 0.5, v18
	v_mul_f32_e32 v3, 0.5, v3
	s_waitcnt vmcnt(5)
	s_delay_alu instid0(VALU_DEP_2) | instskip(NEXT) | instid1(VALU_DEP_2)
	v_mul_f32_e32 v7, v5, v8
	v_fma_f32 v18, v17, v5, v3
	v_fma_f32 v3, v17, v5, -v3
	s_delay_alu instid0(VALU_DEP_3) | instskip(SKIP_1) | instid1(VALU_DEP_4)
	v_fma_f32 v5, 0.5, v2, v7
	v_fma_f32 v2, v2, 0.5, -v7
	v_fma_f32 v7, -v4, v8, v18
	s_delay_alu instid0(VALU_DEP_4) | instskip(NEXT) | instid1(VALU_DEP_4)
	v_fma_f32 v3, -v4, v8, v3
	v_fmac_f32_e32 v5, v4, v17
	s_delay_alu instid0(VALU_DEP_4)
	v_fma_f32 v2, -v4, v17, v2
	v_add_nc_u32_e32 v17, 0x400, v59
	ds_store_2addr_b32 v59, v5, v7 offset0:136 offset1:137
	ds_store_b64 v6, v[2:3] offset:7072
	ds_load_b64 v[2:3], v59 offset:1088
	ds_load_b64 v[4:5], v6 offset:6528
	s_waitcnt lgkmcnt(0)
	v_dual_sub_f32 v7, v2, v4 :: v_dual_add_f32 v8, v3, v5
	v_dual_sub_f32 v3, v3, v5 :: v_dual_add_f32 v2, v2, v4
	s_delay_alu instid0(VALU_DEP_2) | instskip(NEXT) | instid1(VALU_DEP_3)
	v_mul_f32_e32 v5, 0.5, v7
	v_mul_f32_e32 v7, 0.5, v8
	s_waitcnt vmcnt(4)
	s_delay_alu instid0(VALU_DEP_2) | instskip(NEXT) | instid1(VALU_DEP_1)
	v_dual_mul_f32 v3, 0.5, v3 :: v_dual_mul_f32 v4, v10, v5
	v_fma_f32 v8, v7, v10, v3
	v_fma_f32 v3, v7, v10, -v3
	s_delay_alu instid0(VALU_DEP_3) | instskip(SKIP_1) | instid1(VALU_DEP_4)
	v_fma_f32 v10, 0.5, v2, v4
	v_fma_f32 v2, v2, 0.5, -v4
	v_fma_f32 v4, -v9, v5, v8
	s_delay_alu instid0(VALU_DEP_4) | instskip(NEXT) | instid1(VALU_DEP_4)
	v_fma_f32 v3, -v9, v5, v3
	v_fmac_f32_e32 v10, v9, v7
	s_delay_alu instid0(VALU_DEP_4)
	v_fma_f32 v2, -v9, v7, v2
	ds_store_2addr_b32 v17, v10, v4 offset0:16 offset1:17
	ds_store_b64 v6, v[2:3] offset:6528
	ds_load_b64 v[2:3], v59 offset:1632
	ds_load_b64 v[4:5], v6 offset:5984
	s_waitcnt lgkmcnt(0)
	v_dual_sub_f32 v7, v2, v4 :: v_dual_add_nc_u32 v10, 0x800, v59
	v_add_f32_e32 v8, v3, v5
	v_dual_sub_f32 v3, v3, v5 :: v_dual_add_f32 v2, v2, v4
	s_delay_alu instid0(VALU_DEP_3) | instskip(NEXT) | instid1(VALU_DEP_3)
	v_mul_f32_e32 v5, 0.5, v7
	v_mul_f32_e32 v7, 0.5, v8
	s_waitcnt vmcnt(3)
	s_delay_alu instid0(VALU_DEP_2) | instskip(NEXT) | instid1(VALU_DEP_1)
	v_dual_mul_f32 v3, 0.5, v3 :: v_dual_mul_f32 v4, v12, v5
	v_fma_f32 v8, v7, v12, v3
	v_fma_f32 v3, v7, v12, -v3
	s_delay_alu instid0(VALU_DEP_3) | instskip(SKIP_1) | instid1(VALU_DEP_4)
	v_fma_f32 v9, 0.5, v2, v4
	v_fma_f32 v2, v2, 0.5, -v4
	v_fma_f32 v4, -v11, v5, v8
	s_delay_alu instid0(VALU_DEP_4) | instskip(NEXT) | instid1(VALU_DEP_4)
	v_fma_f32 v3, -v11, v5, v3
	v_fmac_f32_e32 v9, v11, v7
	s_delay_alu instid0(VALU_DEP_4)
	v_fma_f32 v2, -v11, v7, v2
	ds_store_2addr_b32 v17, v9, v4 offset0:152 offset1:153
	ds_store_b64 v6, v[2:3] offset:5984
	ds_load_b64 v[2:3], v59 offset:2176
	ds_load_b64 v[4:5], v6 offset:5440
	s_waitcnt lgkmcnt(0)
	v_dual_sub_f32 v7, v2, v4 :: v_dual_add_f32 v8, v3, v5
	v_dual_sub_f32 v3, v3, v5 :: v_dual_add_f32 v2, v2, v4
	s_delay_alu instid0(VALU_DEP_2) | instskip(NEXT) | instid1(VALU_DEP_3)
	v_mul_f32_e32 v5, 0.5, v7
	v_mul_f32_e32 v7, 0.5, v8
	s_waitcnt vmcnt(2)
	s_delay_alu instid0(VALU_DEP_2) | instskip(NEXT) | instid1(VALU_DEP_1)
	v_dual_mul_f32 v3, 0.5, v3 :: v_dual_mul_f32 v4, v14, v5
	v_fma_f32 v8, v7, v14, v3
	v_fma_f32 v3, v7, v14, -v3
	s_delay_alu instid0(VALU_DEP_3) | instskip(SKIP_1) | instid1(VALU_DEP_4)
	v_fma_f32 v9, 0.5, v2, v4
	v_fma_f32 v2, v2, 0.5, -v4
	v_fma_f32 v4, -v13, v5, v8
	s_delay_alu instid0(VALU_DEP_4) | instskip(NEXT) | instid1(VALU_DEP_4)
	v_fma_f32 v3, -v13, v5, v3
	v_fmac_f32_e32 v9, v13, v7
	s_delay_alu instid0(VALU_DEP_4)
	v_fma_f32 v2, -v13, v7, v2
	ds_store_2addr_b32 v10, v9, v4 offset0:32 offset1:33
	ds_store_b64 v6, v[2:3] offset:5440
	ds_load_b64 v[2:3], v59 offset:2720
	ds_load_b64 v[4:5], v6 offset:4896
	s_waitcnt lgkmcnt(0)
	v_dual_sub_f32 v7, v2, v4 :: v_dual_add_f32 v8, v3, v5
	v_dual_sub_f32 v3, v3, v5 :: v_dual_add_f32 v2, v2, v4
	s_delay_alu instid0(VALU_DEP_2) | instskip(NEXT) | instid1(VALU_DEP_3)
	v_mul_f32_e32 v5, 0.5, v7
	v_mul_f32_e32 v7, 0.5, v8
	s_waitcnt vmcnt(1)
	s_delay_alu instid0(VALU_DEP_2) | instskip(NEXT) | instid1(VALU_DEP_1)
	v_dual_mul_f32 v3, 0.5, v3 :: v_dual_mul_f32 v4, v16, v5
	v_fma_f32 v8, v7, v16, v3
	v_fma_f32 v3, v7, v16, -v3
	s_delay_alu instid0(VALU_DEP_3) | instskip(SKIP_1) | instid1(VALU_DEP_4)
	v_fma_f32 v9, 0.5, v2, v4
	v_fma_f32 v2, v2, 0.5, -v4
	v_fma_f32 v4, -v15, v5, v8
	s_delay_alu instid0(VALU_DEP_4) | instskip(NEXT) | instid1(VALU_DEP_4)
	v_fma_f32 v3, -v15, v5, v3
	v_fmac_f32_e32 v9, v15, v7
	s_delay_alu instid0(VALU_DEP_4)
	v_fma_f32 v2, -v15, v7, v2
	ds_store_2addr_b32 v10, v9, v4 offset0:168 offset1:169
	ds_store_b64 v6, v[2:3] offset:4896
	ds_load_b64 v[2:3], v59 offset:3264
	ds_load_b64 v[4:5], v6 offset:4352
	s_waitcnt lgkmcnt(0)
	v_dual_add_f32 v8, v3, v5 :: v_dual_sub_f32 v7, v2, v4
	v_dual_sub_f32 v3, v3, v5 :: v_dual_add_f32 v2, v2, v4
	s_delay_alu instid0(VALU_DEP_2) | instskip(NEXT) | instid1(VALU_DEP_3)
	v_mul_f32_e32 v5, 0.5, v7
	v_mul_f32_e32 v7, 0.5, v8
	s_waitcnt vmcnt(0)
	s_delay_alu instid0(VALU_DEP_2) | instskip(NEXT) | instid1(VALU_DEP_1)
	v_dual_mul_f32 v3, 0.5, v3 :: v_dual_mul_f32 v4, v1, v5
	v_fma_f32 v8, v7, v1, v3
	v_fma_f32 v1, v7, v1, -v3
	s_delay_alu instid0(VALU_DEP_3)
	v_fma_f32 v3, 0.5, v2, v4
	v_fma_f32 v2, v2, 0.5, -v4
	v_add_nc_u32_e32 v4, 0xc00, v59
	v_fma_f32 v8, -v0, v5, v8
	v_fma_f32 v1, -v0, v5, v1
	v_fmac_f32_e32 v3, v0, v7
	v_fma_f32 v0, -v0, v7, v2
	ds_store_2addr_b32 v4, v3, v8 offset0:48 offset1:49
	ds_store_b64 v6, v[0:1] offset:4352
	s_waitcnt lgkmcnt(0)
	s_barrier
	buffer_gl0_inv
	s_and_saveexec_b32 s0, vcc_lo
	s_cbranch_execz .LBB0_25
; %bb.23:
	v_mul_lo_u32 v3, s3, v44
	v_mul_lo_u32 v4, s2, v45
	v_mad_u64_u32 v[1:2], null, s2, v44, 0
	v_mov_b32_e32 v43, 0
	v_lshlrev_b64 v[11:12], 3, v[40:41]
	v_lshl_add_u32 v0, v42, 3, v58
	v_add_nc_u32_e32 v15, 0x88, v42
	s_delay_alu instid0(VALU_DEP_4)
	v_dual_mov_b32 v14, v43 :: v_dual_add_nc_u32 v13, 0x44, v42
	v_add3_u32 v2, v2, v4, v3
	v_lshlrev_b64 v[17:18], 3, v[42:43]
	v_mov_b32_e32 v16, v43
	ds_load_2addr_b64 v[3:6], v0 offset1:68
	ds_load_2addr_b64 v[7:10], v0 offset0:136 offset1:204
	v_lshlrev_b64 v[1:2], 3, v[1:2]
	v_lshlrev_b64 v[13:14], 3, v[13:14]
	v_dual_mov_b32 v20, v43 :: v_dual_add_nc_u32 v19, 0x110, v42
	v_add_nc_u32_e32 v21, 0x800, v0
	v_add_nc_u32_e32 v23, 0x1000, v0
	v_add_co_u32 v1, vcc_lo, s6, v1
	v_add_co_ci_u32_e32 v2, vcc_lo, s7, v2, vcc_lo
	v_add_nc_u32_e32 v25, 0x1800, v0
	s_delay_alu instid0(VALU_DEP_3) | instskip(NEXT) | instid1(VALU_DEP_3)
	v_add_co_u32 v1, vcc_lo, v1, v11
	v_add_co_ci_u32_e32 v2, vcc_lo, v2, v12, vcc_lo
	v_lshlrev_b64 v[11:12], 3, v[15:16]
	s_delay_alu instid0(VALU_DEP_3) | instskip(NEXT) | instid1(VALU_DEP_3)
	v_add_co_u32 v15, vcc_lo, v1, v17
	v_add_co_ci_u32_e32 v16, vcc_lo, v2, v18, vcc_lo
	v_dual_mov_b32 v18, v43 :: v_dual_add_nc_u32 v17, 0xcc, v42
	v_add_co_u32 v13, vcc_lo, v1, v13
	v_add_co_ci_u32_e32 v14, vcc_lo, v2, v14, vcc_lo
	s_delay_alu instid0(VALU_DEP_3) | instskip(SKIP_3) | instid1(VALU_DEP_4)
	v_lshlrev_b64 v[17:18], 3, v[17:18]
	v_add_co_u32 v11, vcc_lo, v1, v11
	v_add_co_ci_u32_e32 v12, vcc_lo, v2, v12, vcc_lo
	v_mov_b32_e32 v22, v43
	v_add_co_u32 v17, vcc_lo, v1, v17
	v_add_co_ci_u32_e32 v18, vcc_lo, v2, v18, vcc_lo
	s_waitcnt lgkmcnt(1)
	s_clause 0x1
	global_store_b64 v[15:16], v[3:4], off
	global_store_b64 v[13:14], v[5:6], off
	s_waitcnt lgkmcnt(0)
	s_clause 0x1
	global_store_b64 v[11:12], v[7:8], off
	global_store_b64 v[17:18], v[9:10], off
	v_lshlrev_b64 v[7:8], 3, v[19:20]
	v_dual_mov_b32 v12, v43 :: v_dual_add_nc_u32 v9, 0x154, v42
	v_mov_b32_e32 v10, v43
	ds_load_2addr_b64 v[3:6], v21 offset0:16 offset1:84
	v_dual_mov_b32 v18, v43 :: v_dual_add_nc_u32 v11, 0x198, v42
	v_add_co_u32 v13, vcc_lo, v1, v7
	v_add_co_ci_u32_e32 v14, vcc_lo, v2, v8, vcc_lo
	v_lshlrev_b64 v[15:16], 3, v[9:10]
	ds_load_2addr_b64 v[7:10], v21 offset0:152 offset1:220
	v_add_nc_u32_e32 v17, 0x1dc, v42
	v_lshlrev_b64 v[11:12], 3, v[11:12]
	v_add_nc_u32_e32 v19, 0x220, v42
	v_add_nc_u32_e32 v21, 0x264, v42
	v_add_co_u32 v15, vcc_lo, v1, v15
	v_lshlrev_b64 v[17:18], 3, v[17:18]
	v_add_co_ci_u32_e32 v16, vcc_lo, v2, v16, vcc_lo
	v_add_co_u32 v11, vcc_lo, v1, v11
	v_add_co_ci_u32_e32 v12, vcc_lo, v2, v12, vcc_lo
	s_delay_alu instid0(VALU_DEP_4)
	v_add_co_u32 v17, vcc_lo, v1, v17
	v_add_co_ci_u32_e32 v18, vcc_lo, v2, v18, vcc_lo
	s_waitcnt lgkmcnt(1)
	s_clause 0x1
	global_store_b64 v[13:14], v[3:4], off
	global_store_b64 v[15:16], v[5:6], off
	s_waitcnt lgkmcnt(0)
	s_clause 0x1
	global_store_b64 v[11:12], v[7:8], off
	global_store_b64 v[17:18], v[9:10], off
	v_mov_b32_e32 v12, v43
	v_lshlrev_b64 v[19:20], 3, v[19:20]
	v_dual_mov_b32 v26, v43 :: v_dual_add_nc_u32 v11, 0x2a8, v42
	v_dual_mov_b32 v14, v43 :: v_dual_add_nc_u32 v13, 0x2ec, v42
	ds_load_2addr_b64 v[3:6], v23 offset0:32 offset1:100
	v_add_co_u32 v15, vcc_lo, v1, v19
	v_add_co_ci_u32_e32 v16, vcc_lo, v2, v20, vcc_lo
	v_mov_b32_e32 v20, v43
	v_lshlrev_b64 v[7:8], 3, v[21:22]
	v_lshlrev_b64 v[11:12], 3, v[11:12]
	v_add_nc_u32_e32 v19, 0x330, v42
	s_delay_alu instid0(VALU_DEP_3) | instskip(NEXT) | instid1(VALU_DEP_4)
	v_add_co_u32 v17, vcc_lo, v1, v7
	v_add_co_ci_u32_e32 v18, vcc_lo, v2, v8, vcc_lo
	s_delay_alu instid0(VALU_DEP_4)
	v_add_co_u32 v21, vcc_lo, v1, v11
	ds_load_2addr_b64 v[7:10], v23 offset0:168 offset1:236
	v_lshlrev_b64 v[23:24], 3, v[13:14]
	v_add_co_ci_u32_e32 v22, vcc_lo, v2, v12, vcc_lo
	ds_load_2addr_b64 v[11:14], v25 offset0:48 offset1:116
	v_add_nc_u32_e32 v25, 0x374, v42
	v_lshlrev_b64 v[19:20], 3, v[19:20]
	v_add_co_u32 v23, vcc_lo, v1, v23
	v_add_co_ci_u32_e32 v24, vcc_lo, v2, v24, vcc_lo
	s_delay_alu instid0(VALU_DEP_4) | instskip(NEXT) | instid1(VALU_DEP_4)
	v_lshlrev_b64 v[25:26], 3, v[25:26]
	v_add_co_u32 v19, vcc_lo, v1, v19
	v_add_co_ci_u32_e32 v20, vcc_lo, v2, v20, vcc_lo
	s_delay_alu instid0(VALU_DEP_3) | instskip(NEXT) | instid1(VALU_DEP_4)
	v_add_co_u32 v25, vcc_lo, v1, v25
	v_add_co_ci_u32_e32 v26, vcc_lo, v2, v26, vcc_lo
	v_cmp_eq_u32_e32 vcc_lo, 0x43, v42
	s_waitcnt lgkmcnt(2)
	s_clause 0x1
	global_store_b64 v[15:16], v[3:4], off
	global_store_b64 v[17:18], v[5:6], off
	s_waitcnt lgkmcnt(1)
	s_clause 0x1
	global_store_b64 v[21:22], v[7:8], off
	global_store_b64 v[23:24], v[9:10], off
	s_waitcnt lgkmcnt(0)
	s_clause 0x1
	global_store_b64 v[19:20], v[11:12], off
	global_store_b64 v[25:26], v[13:14], off
	s_and_b32 exec_lo, exec_lo, vcc_lo
	s_cbranch_execz .LBB0_25
; %bb.24:
	ds_load_b64 v[3:4], v0 offset:7080
	v_add_co_u32 v0, vcc_lo, 0x1000, v1
	v_add_co_ci_u32_e32 v1, vcc_lo, 0, v2, vcc_lo
	s_waitcnt lgkmcnt(0)
	global_store_b64 v[0:1], v[3:4], off offset:3520
.LBB0_25:
	s_nop 0
	s_sendmsg sendmsg(MSG_DEALLOC_VGPRS)
	s_endpgm
	.section	.rodata,"a",@progbits
	.p2align	6, 0x0
	.amdhsa_kernel fft_rtc_fwd_len952_factors_17_4_2_7_wgs_204_tpt_68_halfLds_sp_op_CI_CI_unitstride_sbrr_R2C_dirReg
		.amdhsa_group_segment_fixed_size 0
		.amdhsa_private_segment_fixed_size 0
		.amdhsa_kernarg_size 104
		.amdhsa_user_sgpr_count 15
		.amdhsa_user_sgpr_dispatch_ptr 0
		.amdhsa_user_sgpr_queue_ptr 0
		.amdhsa_user_sgpr_kernarg_segment_ptr 1
		.amdhsa_user_sgpr_dispatch_id 0
		.amdhsa_user_sgpr_private_segment_size 0
		.amdhsa_wavefront_size32 1
		.amdhsa_uses_dynamic_stack 0
		.amdhsa_enable_private_segment 0
		.amdhsa_system_sgpr_workgroup_id_x 1
		.amdhsa_system_sgpr_workgroup_id_y 0
		.amdhsa_system_sgpr_workgroup_id_z 0
		.amdhsa_system_sgpr_workgroup_info 0
		.amdhsa_system_vgpr_workitem_id 0
		.amdhsa_next_free_vgpr 207
		.amdhsa_next_free_sgpr 27
		.amdhsa_reserve_vcc 1
		.amdhsa_float_round_mode_32 0
		.amdhsa_float_round_mode_16_64 0
		.amdhsa_float_denorm_mode_32 3
		.amdhsa_float_denorm_mode_16_64 3
		.amdhsa_dx10_clamp 1
		.amdhsa_ieee_mode 1
		.amdhsa_fp16_overflow 0
		.amdhsa_workgroup_processor_mode 1
		.amdhsa_memory_ordered 1
		.amdhsa_forward_progress 0
		.amdhsa_shared_vgpr_count 0
		.amdhsa_exception_fp_ieee_invalid_op 0
		.amdhsa_exception_fp_denorm_src 0
		.amdhsa_exception_fp_ieee_div_zero 0
		.amdhsa_exception_fp_ieee_overflow 0
		.amdhsa_exception_fp_ieee_underflow 0
		.amdhsa_exception_fp_ieee_inexact 0
		.amdhsa_exception_int_div_zero 0
	.end_amdhsa_kernel
	.text
.Lfunc_end0:
	.size	fft_rtc_fwd_len952_factors_17_4_2_7_wgs_204_tpt_68_halfLds_sp_op_CI_CI_unitstride_sbrr_R2C_dirReg, .Lfunc_end0-fft_rtc_fwd_len952_factors_17_4_2_7_wgs_204_tpt_68_halfLds_sp_op_CI_CI_unitstride_sbrr_R2C_dirReg
                                        ; -- End function
	.section	.AMDGPU.csdata,"",@progbits
; Kernel info:
; codeLenInByte = 13516
; NumSgprs: 29
; NumVgprs: 207
; ScratchSize: 0
; MemoryBound: 0
; FloatMode: 240
; IeeeMode: 1
; LDSByteSize: 0 bytes/workgroup (compile time only)
; SGPRBlocks: 3
; VGPRBlocks: 25
; NumSGPRsForWavesPerEU: 29
; NumVGPRsForWavesPerEU: 207
; Occupancy: 7
; WaveLimiterHint : 1
; COMPUTE_PGM_RSRC2:SCRATCH_EN: 0
; COMPUTE_PGM_RSRC2:USER_SGPR: 15
; COMPUTE_PGM_RSRC2:TRAP_HANDLER: 0
; COMPUTE_PGM_RSRC2:TGID_X_EN: 1
; COMPUTE_PGM_RSRC2:TGID_Y_EN: 0
; COMPUTE_PGM_RSRC2:TGID_Z_EN: 0
; COMPUTE_PGM_RSRC2:TIDIG_COMP_CNT: 0
	.text
	.p2alignl 7, 3214868480
	.fill 96, 4, 3214868480
	.type	__hip_cuid_1b88f873a986b484,@object ; @__hip_cuid_1b88f873a986b484
	.section	.bss,"aw",@nobits
	.globl	__hip_cuid_1b88f873a986b484
__hip_cuid_1b88f873a986b484:
	.byte	0                               ; 0x0
	.size	__hip_cuid_1b88f873a986b484, 1

	.ident	"AMD clang version 19.0.0git (https://github.com/RadeonOpenCompute/llvm-project roc-6.4.0 25133 c7fe45cf4b819c5991fe208aaa96edf142730f1d)"
	.section	".note.GNU-stack","",@progbits
	.addrsig
	.addrsig_sym __hip_cuid_1b88f873a986b484
	.amdgpu_metadata
---
amdhsa.kernels:
  - .args:
      - .actual_access:  read_only
        .address_space:  global
        .offset:         0
        .size:           8
        .value_kind:     global_buffer
      - .offset:         8
        .size:           8
        .value_kind:     by_value
      - .actual_access:  read_only
        .address_space:  global
        .offset:         16
        .size:           8
        .value_kind:     global_buffer
      - .actual_access:  read_only
        .address_space:  global
        .offset:         24
        .size:           8
        .value_kind:     global_buffer
      - .actual_access:  read_only
        .address_space:  global
        .offset:         32
        .size:           8
        .value_kind:     global_buffer
      - .offset:         40
        .size:           8
        .value_kind:     by_value
      - .actual_access:  read_only
        .address_space:  global
        .offset:         48
        .size:           8
        .value_kind:     global_buffer
      - .actual_access:  read_only
        .address_space:  global
        .offset:         56
        .size:           8
        .value_kind:     global_buffer
      - .offset:         64
        .size:           4
        .value_kind:     by_value
      - .actual_access:  read_only
        .address_space:  global
        .offset:         72
        .size:           8
        .value_kind:     global_buffer
      - .actual_access:  read_only
        .address_space:  global
        .offset:         80
        .size:           8
        .value_kind:     global_buffer
      - .actual_access:  read_only
        .address_space:  global
        .offset:         88
        .size:           8
        .value_kind:     global_buffer
      - .actual_access:  write_only
        .address_space:  global
        .offset:         96
        .size:           8
        .value_kind:     global_buffer
    .group_segment_fixed_size: 0
    .kernarg_segment_align: 8
    .kernarg_segment_size: 104
    .language:       OpenCL C
    .language_version:
      - 2
      - 0
    .max_flat_workgroup_size: 204
    .name:           fft_rtc_fwd_len952_factors_17_4_2_7_wgs_204_tpt_68_halfLds_sp_op_CI_CI_unitstride_sbrr_R2C_dirReg
    .private_segment_fixed_size: 0
    .sgpr_count:     29
    .sgpr_spill_count: 0
    .symbol:         fft_rtc_fwd_len952_factors_17_4_2_7_wgs_204_tpt_68_halfLds_sp_op_CI_CI_unitstride_sbrr_R2C_dirReg.kd
    .uniform_work_group_size: 1
    .uses_dynamic_stack: false
    .vgpr_count:     207
    .vgpr_spill_count: 0
    .wavefront_size: 32
    .workgroup_processor_mode: 1
amdhsa.target:   amdgcn-amd-amdhsa--gfx1100
amdhsa.version:
  - 1
  - 2
...

	.end_amdgpu_metadata
